;; amdgpu-corpus repo=ROCm/rocFFT kind=compiled arch=gfx1100 opt=O3
	.text
	.amdgcn_target "amdgcn-amd-amdhsa--gfx1100"
	.amdhsa_code_object_version 6
	.protected	fft_rtc_fwd_len3645_factors_5_3_3_3_3_3_3_wgs_243_tpt_243_halfLds_sp_op_CI_CI_sbrr_dirReg ; -- Begin function fft_rtc_fwd_len3645_factors_5_3_3_3_3_3_3_wgs_243_tpt_243_halfLds_sp_op_CI_CI_sbrr_dirReg
	.globl	fft_rtc_fwd_len3645_factors_5_3_3_3_3_3_3_wgs_243_tpt_243_halfLds_sp_op_CI_CI_sbrr_dirReg
	.p2align	8
	.type	fft_rtc_fwd_len3645_factors_5_3_3_3_3_3_3_wgs_243_tpt_243_halfLds_sp_op_CI_CI_sbrr_dirReg,@function
fft_rtc_fwd_len3645_factors_5_3_3_3_3_3_3_wgs_243_tpt_243_halfLds_sp_op_CI_CI_sbrr_dirReg: ; @fft_rtc_fwd_len3645_factors_5_3_3_3_3_3_3_wgs_243_tpt_243_halfLds_sp_op_CI_CI_sbrr_dirReg
; %bb.0:
	s_clause 0x2
	s_load_b128 s[16:19], s[0:1], 0x18
	s_load_b128 s[8:11], s[0:1], 0x0
	;; [unrolled: 1-line block ×3, first 2 shown]
	v_mul_u32_u24_e32 v1, 0x10e, v0
	v_mov_b32_e32 v5, 0
	v_mov_b32_e32 v11, 0
	;; [unrolled: 1-line block ×3, first 2 shown]
	s_waitcnt lgkmcnt(0)
	s_load_b64 s[20:21], s[16:17], 0x0
	s_load_b64 s[12:13], s[18:19], 0x0
	v_lshrrev_b32_e32 v1, 16, v1
	v_cmp_lt_u64_e64 s2, s[10:11], 2
	s_delay_alu instid0(VALU_DEP_2) | instskip(NEXT) | instid1(VALU_DEP_2)
	v_dual_mov_b32 v8, v5 :: v_dual_add_nc_u32 v7, s15, v1
	s_and_b32 vcc_lo, exec_lo, s2
	s_cbranch_vccnz .LBB0_8
; %bb.1:
	s_load_b64 s[2:3], s[0:1], 0x10
	v_mov_b32_e32 v11, 0
	v_mov_b32_e32 v12, 0
	s_add_u32 s14, s18, 8
	s_addc_u32 s15, s19, 0
	s_add_u32 s22, s16, 8
	s_delay_alu instid0(VALU_DEP_1)
	v_dual_mov_b32 v1, v11 :: v_dual_mov_b32 v2, v12
	s_addc_u32 s23, s17, 0
	s_mov_b64 s[26:27], 1
	s_waitcnt lgkmcnt(0)
	s_add_u32 s24, s2, 8
	s_addc_u32 s25, s3, 0
.LBB0_2:                                ; =>This Inner Loop Header: Depth=1
	s_load_b64 s[28:29], s[24:25], 0x0
                                        ; implicit-def: $vgpr3_vgpr4
	s_mov_b32 s2, exec_lo
	s_waitcnt lgkmcnt(0)
	v_or_b32_e32 v6, s29, v8
	s_delay_alu instid0(VALU_DEP_1)
	v_cmpx_ne_u64_e32 0, v[5:6]
	s_xor_b32 s3, exec_lo, s2
	s_cbranch_execz .LBB0_4
; %bb.3:                                ;   in Loop: Header=BB0_2 Depth=1
	v_cvt_f32_u32_e32 v3, s28
	v_cvt_f32_u32_e32 v4, s29
	s_sub_u32 s2, 0, s28
	s_subb_u32 s30, 0, s29
	s_delay_alu instid0(VALU_DEP_1) | instskip(NEXT) | instid1(VALU_DEP_1)
	v_fmac_f32_e32 v3, 0x4f800000, v4
	v_rcp_f32_e32 v3, v3
	s_waitcnt_depctr 0xfff
	v_mul_f32_e32 v3, 0x5f7ffffc, v3
	s_delay_alu instid0(VALU_DEP_1) | instskip(NEXT) | instid1(VALU_DEP_1)
	v_mul_f32_e32 v4, 0x2f800000, v3
	v_trunc_f32_e32 v4, v4
	s_delay_alu instid0(VALU_DEP_1) | instskip(SKIP_1) | instid1(VALU_DEP_2)
	v_fmac_f32_e32 v3, 0xcf800000, v4
	v_cvt_u32_f32_e32 v4, v4
	v_cvt_u32_f32_e32 v3, v3
	s_delay_alu instid0(VALU_DEP_2) | instskip(NEXT) | instid1(VALU_DEP_2)
	v_mul_lo_u32 v6, s2, v4
	v_mul_hi_u32 v9, s2, v3
	v_mul_lo_u32 v10, s30, v3
	s_delay_alu instid0(VALU_DEP_2) | instskip(SKIP_1) | instid1(VALU_DEP_2)
	v_add_nc_u32_e32 v6, v9, v6
	v_mul_lo_u32 v9, s2, v3
	v_add_nc_u32_e32 v6, v6, v10
	s_delay_alu instid0(VALU_DEP_2) | instskip(NEXT) | instid1(VALU_DEP_2)
	v_mul_hi_u32 v10, v3, v9
	v_mul_lo_u32 v13, v3, v6
	v_mul_hi_u32 v14, v3, v6
	v_mul_hi_u32 v15, v4, v9
	v_mul_lo_u32 v9, v4, v9
	v_mul_hi_u32 v16, v4, v6
	v_mul_lo_u32 v6, v4, v6
	v_add_co_u32 v10, vcc_lo, v10, v13
	v_add_co_ci_u32_e32 v13, vcc_lo, 0, v14, vcc_lo
	s_delay_alu instid0(VALU_DEP_2) | instskip(NEXT) | instid1(VALU_DEP_2)
	v_add_co_u32 v9, vcc_lo, v10, v9
	v_add_co_ci_u32_e32 v9, vcc_lo, v13, v15, vcc_lo
	v_add_co_ci_u32_e32 v10, vcc_lo, 0, v16, vcc_lo
	s_delay_alu instid0(VALU_DEP_2) | instskip(NEXT) | instid1(VALU_DEP_2)
	v_add_co_u32 v6, vcc_lo, v9, v6
	v_add_co_ci_u32_e32 v9, vcc_lo, 0, v10, vcc_lo
	s_delay_alu instid0(VALU_DEP_2) | instskip(NEXT) | instid1(VALU_DEP_2)
	v_add_co_u32 v3, vcc_lo, v3, v6
	v_add_co_ci_u32_e32 v4, vcc_lo, v4, v9, vcc_lo
	s_delay_alu instid0(VALU_DEP_2) | instskip(SKIP_1) | instid1(VALU_DEP_3)
	v_mul_hi_u32 v6, s2, v3
	v_mul_lo_u32 v10, s30, v3
	v_mul_lo_u32 v9, s2, v4
	s_delay_alu instid0(VALU_DEP_1) | instskip(SKIP_1) | instid1(VALU_DEP_2)
	v_add_nc_u32_e32 v6, v6, v9
	v_mul_lo_u32 v9, s2, v3
	v_add_nc_u32_e32 v6, v6, v10
	s_delay_alu instid0(VALU_DEP_2) | instskip(NEXT) | instid1(VALU_DEP_2)
	v_mul_hi_u32 v10, v3, v9
	v_mul_lo_u32 v13, v3, v6
	v_mul_hi_u32 v14, v3, v6
	v_mul_hi_u32 v15, v4, v9
	v_mul_lo_u32 v9, v4, v9
	v_mul_hi_u32 v16, v4, v6
	v_mul_lo_u32 v6, v4, v6
	v_add_co_u32 v10, vcc_lo, v10, v13
	v_add_co_ci_u32_e32 v13, vcc_lo, 0, v14, vcc_lo
	s_delay_alu instid0(VALU_DEP_2) | instskip(NEXT) | instid1(VALU_DEP_2)
	v_add_co_u32 v9, vcc_lo, v10, v9
	v_add_co_ci_u32_e32 v9, vcc_lo, v13, v15, vcc_lo
	v_add_co_ci_u32_e32 v10, vcc_lo, 0, v16, vcc_lo
	s_delay_alu instid0(VALU_DEP_2) | instskip(NEXT) | instid1(VALU_DEP_2)
	v_add_co_u32 v6, vcc_lo, v9, v6
	v_add_co_ci_u32_e32 v9, vcc_lo, 0, v10, vcc_lo
	s_delay_alu instid0(VALU_DEP_2) | instskip(NEXT) | instid1(VALU_DEP_2)
	v_add_co_u32 v6, vcc_lo, v3, v6
	v_add_co_ci_u32_e32 v15, vcc_lo, v4, v9, vcc_lo
	s_delay_alu instid0(VALU_DEP_2) | instskip(SKIP_1) | instid1(VALU_DEP_3)
	v_mul_hi_u32 v16, v7, v6
	v_mad_u64_u32 v[9:10], null, v8, v6, 0
	v_mad_u64_u32 v[3:4], null, v7, v15, 0
	;; [unrolled: 1-line block ×3, first 2 shown]
	s_delay_alu instid0(VALU_DEP_2) | instskip(NEXT) | instid1(VALU_DEP_3)
	v_add_co_u32 v3, vcc_lo, v16, v3
	v_add_co_ci_u32_e32 v4, vcc_lo, 0, v4, vcc_lo
	s_delay_alu instid0(VALU_DEP_2) | instskip(NEXT) | instid1(VALU_DEP_2)
	v_add_co_u32 v3, vcc_lo, v3, v9
	v_add_co_ci_u32_e32 v3, vcc_lo, v4, v10, vcc_lo
	v_add_co_ci_u32_e32 v4, vcc_lo, 0, v14, vcc_lo
	s_delay_alu instid0(VALU_DEP_2) | instskip(NEXT) | instid1(VALU_DEP_2)
	v_add_co_u32 v6, vcc_lo, v3, v13
	v_add_co_ci_u32_e32 v9, vcc_lo, 0, v4, vcc_lo
	s_delay_alu instid0(VALU_DEP_2) | instskip(SKIP_1) | instid1(VALU_DEP_3)
	v_mul_lo_u32 v10, s29, v6
	v_mad_u64_u32 v[3:4], null, s28, v6, 0
	v_mul_lo_u32 v13, s28, v9
	s_delay_alu instid0(VALU_DEP_2) | instskip(NEXT) | instid1(VALU_DEP_2)
	v_sub_co_u32 v3, vcc_lo, v7, v3
	v_add3_u32 v4, v4, v13, v10
	s_delay_alu instid0(VALU_DEP_1) | instskip(NEXT) | instid1(VALU_DEP_1)
	v_sub_nc_u32_e32 v10, v8, v4
	v_subrev_co_ci_u32_e64 v10, s2, s29, v10, vcc_lo
	v_add_co_u32 v13, s2, v6, 2
	s_delay_alu instid0(VALU_DEP_1) | instskip(SKIP_3) | instid1(VALU_DEP_3)
	v_add_co_ci_u32_e64 v14, s2, 0, v9, s2
	v_sub_co_u32 v15, s2, v3, s28
	v_sub_co_ci_u32_e32 v4, vcc_lo, v8, v4, vcc_lo
	v_subrev_co_ci_u32_e64 v10, s2, 0, v10, s2
	v_cmp_le_u32_e32 vcc_lo, s28, v15
	s_delay_alu instid0(VALU_DEP_3) | instskip(SKIP_1) | instid1(VALU_DEP_4)
	v_cmp_eq_u32_e64 s2, s29, v4
	v_cndmask_b32_e64 v15, 0, -1, vcc_lo
	v_cmp_le_u32_e32 vcc_lo, s29, v10
	v_cndmask_b32_e64 v16, 0, -1, vcc_lo
	v_cmp_le_u32_e32 vcc_lo, s28, v3
	;; [unrolled: 2-line block ×3, first 2 shown]
	v_cndmask_b32_e64 v17, 0, -1, vcc_lo
	v_cmp_eq_u32_e32 vcc_lo, s29, v10
	s_delay_alu instid0(VALU_DEP_2) | instskip(SKIP_3) | instid1(VALU_DEP_3)
	v_cndmask_b32_e64 v3, v17, v3, s2
	v_cndmask_b32_e32 v10, v16, v15, vcc_lo
	v_add_co_u32 v15, vcc_lo, v6, 1
	v_add_co_ci_u32_e32 v16, vcc_lo, 0, v9, vcc_lo
	v_cmp_ne_u32_e32 vcc_lo, 0, v10
	s_delay_alu instid0(VALU_DEP_2) | instskip(NEXT) | instid1(VALU_DEP_4)
	v_cndmask_b32_e32 v4, v16, v14, vcc_lo
	v_cndmask_b32_e32 v10, v15, v13, vcc_lo
	v_cmp_ne_u32_e32 vcc_lo, 0, v3
	s_delay_alu instid0(VALU_DEP_2)
	v_dual_cndmask_b32 v4, v9, v4 :: v_dual_cndmask_b32 v3, v6, v10
.LBB0_4:                                ;   in Loop: Header=BB0_2 Depth=1
	s_and_not1_saveexec_b32 s2, s3
	s_cbranch_execz .LBB0_6
; %bb.5:                                ;   in Loop: Header=BB0_2 Depth=1
	v_cvt_f32_u32_e32 v3, s28
	s_sub_i32 s3, 0, s28
	s_delay_alu instid0(VALU_DEP_1) | instskip(SKIP_2) | instid1(VALU_DEP_1)
	v_rcp_iflag_f32_e32 v3, v3
	s_waitcnt_depctr 0xfff
	v_mul_f32_e32 v3, 0x4f7ffffe, v3
	v_cvt_u32_f32_e32 v3, v3
	s_delay_alu instid0(VALU_DEP_1) | instskip(NEXT) | instid1(VALU_DEP_1)
	v_mul_lo_u32 v4, s3, v3
	v_mul_hi_u32 v4, v3, v4
	s_delay_alu instid0(VALU_DEP_1) | instskip(NEXT) | instid1(VALU_DEP_1)
	v_add_nc_u32_e32 v3, v3, v4
	v_mul_hi_u32 v3, v7, v3
	s_delay_alu instid0(VALU_DEP_1) | instskip(SKIP_1) | instid1(VALU_DEP_2)
	v_mul_lo_u32 v4, v3, s28
	v_add_nc_u32_e32 v6, 1, v3
	v_sub_nc_u32_e32 v4, v7, v4
	s_delay_alu instid0(VALU_DEP_1) | instskip(SKIP_1) | instid1(VALU_DEP_2)
	v_subrev_nc_u32_e32 v9, s28, v4
	v_cmp_le_u32_e32 vcc_lo, s28, v4
	v_dual_cndmask_b32 v4, v4, v9 :: v_dual_cndmask_b32 v3, v3, v6
	s_delay_alu instid0(VALU_DEP_1) | instskip(SKIP_1) | instid1(VALU_DEP_3)
	v_cmp_le_u32_e32 vcc_lo, s28, v4
	v_mov_b32_e32 v4, v5
	v_add_nc_u32_e32 v6, 1, v3
	s_delay_alu instid0(VALU_DEP_1)
	v_cndmask_b32_e32 v3, v3, v6, vcc_lo
.LBB0_6:                                ;   in Loop: Header=BB0_2 Depth=1
	s_or_b32 exec_lo, exec_lo, s2
	s_delay_alu instid0(VALU_DEP_1) | instskip(NEXT) | instid1(VALU_DEP_2)
	v_mul_lo_u32 v6, v4, s28
	v_mul_lo_u32 v13, v3, s29
	s_load_b64 s[2:3], s[22:23], 0x0
	v_mad_u64_u32 v[9:10], null, v3, s28, 0
	s_load_b64 s[28:29], s[14:15], 0x0
	s_add_u32 s26, s26, 1
	s_addc_u32 s27, s27, 0
	s_add_u32 s14, s14, 8
	s_addc_u32 s15, s15, 0
	s_add_u32 s22, s22, 8
	s_delay_alu instid0(VALU_DEP_1) | instskip(SKIP_3) | instid1(VALU_DEP_2)
	v_add3_u32 v6, v10, v13, v6
	v_sub_co_u32 v10, vcc_lo, v7, v9
	s_addc_u32 s23, s23, 0
	s_add_u32 s24, s24, 8
	v_sub_co_ci_u32_e32 v8, vcc_lo, v8, v6, vcc_lo
	s_addc_u32 s25, s25, 0
	s_waitcnt lgkmcnt(0)
	s_delay_alu instid0(VALU_DEP_1)
	v_mul_lo_u32 v13, s2, v8
	v_mul_lo_u32 v14, s3, v10
	v_mad_u64_u32 v[6:7], null, s2, v10, v[11:12]
	v_mul_lo_u32 v15, s28, v8
	v_mul_lo_u32 v16, s29, v10
	v_mad_u64_u32 v[8:9], null, s28, v10, v[1:2]
	v_cmp_ge_u64_e64 s2, s[26:27], s[10:11]
	v_add3_u32 v12, v14, v7, v13
	v_mov_b32_e32 v11, v6
	s_delay_alu instid0(VALU_DEP_4)
	v_add3_u32 v2, v16, v9, v15
	v_mov_b32_e32 v1, v8
	s_and_b32 vcc_lo, exec_lo, s2
	s_cbranch_vccnz .LBB0_9
; %bb.7:                                ;   in Loop: Header=BB0_2 Depth=1
	v_dual_mov_b32 v8, v4 :: v_dual_mov_b32 v7, v3
	s_branch .LBB0_2
.LBB0_8:
	v_dual_mov_b32 v1, v11 :: v_dual_mov_b32 v2, v12
	s_delay_alu instid0(VALU_DEP_2)
	v_dual_mov_b32 v3, v7 :: v_dual_mov_b32 v4, v8
.LBB0_9:
	s_load_b64 s[0:1], s[0:1], 0x28
	v_mul_hi_u32 v5, 0x10db20b, v0
	s_lshl_b64 s[10:11], s[10:11], 3
                                        ; implicit-def: $vgpr36
                                        ; implicit-def: $vgpr38
                                        ; implicit-def: $vgpr40
                                        ; implicit-def: $vgpr37
                                        ; implicit-def: $vgpr39
	s_delay_alu instid0(SALU_CYCLE_1) | instskip(SKIP_4) | instid1(VALU_DEP_1)
	s_add_u32 s2, s18, s10
	s_addc_u32 s3, s19, s11
	s_waitcnt lgkmcnt(0)
	v_cmp_gt_u64_e32 vcc_lo, s[0:1], v[3:4]
	v_cmp_le_u64_e64 s0, s[0:1], v[3:4]
	s_and_saveexec_b32 s1, s0
	s_delay_alu instid0(SALU_CYCLE_1)
	s_xor_b32 s0, exec_lo, s1
; %bb.10:
	v_mul_u32_u24_e32 v5, 0xf3, v5
                                        ; implicit-def: $vgpr11_vgpr12
	s_delay_alu instid0(VALU_DEP_1) | instskip(NEXT) | instid1(VALU_DEP_1)
	v_sub_nc_u32_e32 v36, v0, v5
                                        ; implicit-def: $vgpr5
                                        ; implicit-def: $vgpr0
	v_add_nc_u32_e32 v38, 0xf3, v36
	v_add_nc_u32_e32 v40, 0x1e6, v36
	v_add_nc_u32_e32 v37, 0x2d9, v36
	v_add_nc_u32_e32 v39, 0x3cc, v36
; %bb.11:
	s_or_saveexec_b32 s1, s0
                                        ; implicit-def: $vgpr19
                                        ; implicit-def: $vgpr13
                                        ; implicit-def: $vgpr17
                                        ; implicit-def: $vgpr15
                                        ; implicit-def: $vgpr10
                                        ; implicit-def: $vgpr33
                                        ; implicit-def: $vgpr31
                                        ; implicit-def: $vgpr23
                                        ; implicit-def: $vgpr21
                                        ; implicit-def: $vgpr8
                                        ; implicit-def: $vgpr35
                                        ; implicit-def: $vgpr25
                                        ; implicit-def: $vgpr29
                                        ; implicit-def: $vgpr27
                                        ; implicit-def: $vgpr6
	s_delay_alu instid0(SALU_CYCLE_1)
	s_xor_b32 exec_lo, exec_lo, s1
	s_cbranch_execz .LBB0_13
; %bb.12:
	s_add_u32 s10, s16, s10
	s_addc_u32 s11, s17, s11
	v_mul_u32_u24_e32 v5, 0xf3, v5
	s_load_b64 s[10:11], s[10:11], 0x0
	s_delay_alu instid0(VALU_DEP_1) | instskip(SKIP_1) | instid1(VALU_DEP_2)
	v_sub_nc_u32_e32 v36, v0, v5
	v_lshlrev_b64 v[5:6], 3, v[11:12]
	v_mad_u64_u32 v[7:8], null, s20, v36, 0
	v_add_nc_u32_e32 v37, 0x2d9, v36
	v_add_nc_u32_e32 v22, 0x5b2, v36
	;; [unrolled: 1-line block ×6, first 2 shown]
	v_mov_b32_e32 v0, v8
	v_mad_u64_u32 v[9:10], null, s20, v37, 0
	s_waitcnt lgkmcnt(0)
	v_mul_lo_u32 v8, s11, v3
	v_mul_lo_u32 v20, s10, v4
	v_mad_u64_u32 v[13:14], null, s10, v3, 0
	v_add_nc_u32_e32 v23, 0x88b, v36
	v_mad_u64_u32 v[11:12], null, s20, v22, 0
	v_mad_u64_u32 v[17:18], null, s21, v36, v[0:1]
	v_mov_b32_e32 v0, v10
	s_delay_alu instid0(VALU_DEP_4) | instskip(SKIP_2) | instid1(VALU_DEP_4)
	v_mad_u64_u32 v[15:16], null, s20, v23, 0
	v_add3_u32 v14, v14, v20, v8
	v_dual_mov_b32 v10, v12 :: v_dual_add_nc_u32 v39, 0x3cc, v36
	v_mad_u64_u32 v[20:21], null, s21, v37, v[0:1]
	s_delay_alu instid0(VALU_DEP_3)
	v_lshlrev_b64 v[13:14], 3, v[13:14]
	v_mov_b32_e32 v12, v16
	v_mov_b32_e32 v8, v17
	v_mad_u64_u32 v[18:19], null, s20, v24, 0
	v_mad_u64_u32 v[16:17], null, s21, v22, v[10:11]
	v_add_co_u32 v0, s0, s4, v13
	v_mad_u64_u32 v[21:22], null, s21, v23, v[12:13]
	v_add_co_ci_u32_e64 v12, s0, s5, v14, s0
	v_mov_b32_e32 v10, v20
	v_lshlrev_b64 v[7:8], 3, v[7:8]
	v_add_co_u32 v47, s0, v0, v5
	s_delay_alu instid0(VALU_DEP_1) | instskip(NEXT) | instid1(VALU_DEP_4)
	v_add_co_ci_u32_e64 v48, s0, v12, v6, s0
	v_lshlrev_b64 v[5:6], 3, v[9:10]
	v_mov_b32_e32 v0, v19
	s_delay_alu instid0(VALU_DEP_4)
	v_add_co_u32 v7, s0, v47, v7
	v_dual_mov_b32 v12, v16 :: v_dual_add_nc_u32 v41, 0x798, v36
	v_mov_b32_e32 v16, v21
	v_add_co_ci_u32_e64 v8, s0, v48, v8, s0
	v_add_co_u32 v9, s0, v47, v5
	v_mad_u64_u32 v[13:14], null, s21, v24, v[0:1]
	v_add_co_ci_u32_e64 v10, s0, v48, v6, s0
	v_lshlrev_b64 v[5:6], 3, v[11:12]
	v_lshlrev_b64 v[11:12], 3, v[15:16]
	v_mad_u64_u32 v[14:15], null, s20, v38, 0
	v_mad_u64_u32 v[20:21], null, s20, v39, 0
	s_delay_alu instid0(VALU_DEP_4) | instskip(SKIP_4) | instid1(VALU_DEP_1)
	v_add_co_u32 v16, s0, v47, v5
	v_add_nc_u32_e32 v43, 0xa71, v36
	v_add_co_ci_u32_e64 v17, s0, v48, v6, s0
	v_mov_b32_e32 v0, v15
	v_add_co_u32 v11, s0, v47, v11
	v_add_co_ci_u32_e64 v12, s0, v48, v12, s0
	s_delay_alu instid0(VALU_DEP_3)
	v_mad_u64_u32 v[22:23], null, s21, v38, v[0:1]
	v_add_nc_u32_e32 v23, 0x6a5, v36
	v_mov_b32_e32 v19, v13
	s_clause 0x3
	global_load_b64 v[5:6], v[7:8], off
	global_load_b64 v[26:27], v[9:10], off
	;; [unrolled: 1-line block ×4, first 2 shown]
	v_mov_b32_e32 v0, v21
	v_mad_u64_u32 v[30:31], null, s20, v40, 0
	v_mad_u64_u32 v[9:10], null, s20, v23, 0
	v_mov_b32_e32 v15, v22
	v_lshlrev_b64 v[7:8], 3, v[18:19]
	v_mad_u64_u32 v[11:12], null, s21, v39, v[0:1]
	v_add_nc_u32_e32 v22, 0x97e, v36
	s_delay_alu instid0(VALU_DEP_4) | instskip(SKIP_2) | instid1(VALU_DEP_1)
	v_lshlrev_b64 v[12:13], 3, v[14:15]
	v_mov_b32_e32 v0, v10
	v_add_co_u32 v7, s0, v47, v7
	v_add_co_ci_u32_e64 v8, s0, v48, v8, s0
	v_mov_b32_e32 v21, v11
	s_delay_alu instid0(VALU_DEP_4) | instskip(SKIP_2) | instid1(VALU_DEP_1)
	v_mad_u64_u32 v[10:11], null, s21, v23, v[0:1]
	v_mad_u64_u32 v[14:15], null, s20, v22, 0
	v_add_co_u32 v11, s0, v47, v12
	v_add_co_ci_u32_e64 v12, s0, v48, v13, s0
	v_add_nc_u32_e32 v13, 0xc57, v36
	v_lshlrev_b64 v[16:17], 3, v[20:21]
	v_mov_b32_e32 v0, v15
	v_lshlrev_b64 v[9:10], 3, v[9:10]
	s_delay_alu instid0(VALU_DEP_4) | instskip(NEXT) | instid1(VALU_DEP_3)
	v_mad_u64_u32 v[18:19], null, s20, v13, 0
	v_mad_u64_u32 v[20:21], null, s21, v22, v[0:1]
	v_add_co_u32 v16, s0, v47, v16
	s_delay_alu instid0(VALU_DEP_1) | instskip(NEXT) | instid1(VALU_DEP_4)
	v_add_co_ci_u32_e64 v17, s0, v48, v17, s0
	v_mov_b32_e32 v0, v19
	v_add_co_u32 v9, s0, v47, v9
	s_delay_alu instid0(VALU_DEP_1) | instskip(SKIP_1) | instid1(VALU_DEP_4)
	v_add_co_ci_u32_e64 v10, s0, v48, v10, s0
	v_mov_b32_e32 v15, v20
	v_mad_u64_u32 v[19:20], null, s21, v13, v[0:1]
	s_clause 0x3
	global_load_b64 v[34:35], v[7:8], off
	global_load_b64 v[7:8], v[11:12], off
	;; [unrolled: 1-line block ×4, first 2 shown]
	v_mov_b32_e32 v0, v31
	v_mad_u64_u32 v[11:12], null, s20, v32, 0
	v_lshlrev_b64 v[9:10], 3, v[14:15]
	s_delay_alu instid0(VALU_DEP_3) | instskip(SKIP_1) | instid1(VALU_DEP_4)
	v_mad_u64_u32 v[13:14], null, s21, v40, v[0:1]
	v_mad_u64_u32 v[14:15], null, s20, v41, 0
	v_mov_b32_e32 v0, v12
	v_lshlrev_b64 v[16:17], 3, v[18:19]
	v_mad_u64_u32 v[18:19], null, s20, v43, 0
	v_mov_b32_e32 v31, v13
	s_delay_alu instid0(VALU_DEP_4) | instskip(SKIP_2) | instid1(VALU_DEP_4)
	v_mad_u64_u32 v[12:13], null, s21, v32, v[0:1]
	v_dual_mov_b32 v0, v15 :: v_dual_add_nc_u32 v13, 0xd4a, v36
	v_add_co_u32 v9, s0, v47, v9
	v_lshlrev_b64 v[30:31], 3, v[30:31]
	s_delay_alu instid0(VALU_DEP_3) | instskip(NEXT) | instid1(VALU_DEP_4)
	v_mad_u64_u32 v[32:33], null, s21, v41, v[0:1]
	v_mad_u64_u32 v[41:42], null, s20, v13, 0
	v_mov_b32_e32 v0, v19
	v_add_co_ci_u32_e64 v10, s0, v48, v10, s0
	v_add_co_u32 v16, s0, v47, v16
	v_mov_b32_e32 v15, v32
	s_delay_alu instid0(VALU_DEP_4) | instskip(SKIP_3) | instid1(VALU_DEP_1)
	v_mad_u64_u32 v[32:33], null, s21, v43, v[0:1]
	v_mov_b32_e32 v0, v42
	v_add_co_ci_u32_e64 v17, s0, v48, v17, s0
	v_add_co_u32 v43, s0, v47, v30
	v_add_co_ci_u32_e64 v44, s0, v48, v31, s0
	v_mov_b32_e32 v19, v32
	v_mad_u64_u32 v[30:31], null, s21, v13, v[0:1]
	v_lshlrev_b64 v[11:12], 3, v[11:12]
	v_lshlrev_b64 v[13:14], 3, v[14:15]
	s_delay_alu instid0(VALU_DEP_4) | instskip(NEXT) | instid1(VALU_DEP_3)
	v_lshlrev_b64 v[18:19], 3, v[18:19]
	v_add_co_u32 v11, s0, v47, v11
	v_mov_b32_e32 v42, v30
	v_add_co_ci_u32_e64 v12, s0, v48, v12, s0
	v_add_co_u32 v45, s0, v47, v13
	s_delay_alu instid0(VALU_DEP_1) | instskip(NEXT) | instid1(VALU_DEP_4)
	v_add_co_ci_u32_e64 v46, s0, v48, v14, s0
	v_lshlrev_b64 v[13:14], 3, v[41:42]
	v_add_co_u32 v18, s0, v47, v18
	s_delay_alu instid0(VALU_DEP_1) | instskip(NEXT) | instid1(VALU_DEP_3)
	v_add_co_ci_u32_e64 v19, s0, v48, v19, s0
	v_add_co_u32 v41, s0, v47, v13
	s_delay_alu instid0(VALU_DEP_1)
	v_add_co_ci_u32_e64 v42, s0, v48, v14, s0
	s_clause 0x6
	global_load_b64 v[30:31], v[9:10], off
	global_load_b64 v[32:33], v[16:17], off
	;; [unrolled: 1-line block ×7, first 2 shown]
.LBB0_13:
	s_or_b32 exec_lo, exec_lo, s1
	s_waitcnt vmcnt(11)
	v_dual_add_f32 v0, v24, v28 :: v_dual_add_f32 v11, v26, v5
	s_waitcnt vmcnt(10)
	v_dual_sub_f32 v41, v27, v35 :: v_dual_sub_f32 v42, v29, v25
	v_sub_f32_e32 v44, v34, v24
	s_delay_alu instid0(VALU_DEP_3)
	v_fma_f32 v0, -0.5, v0, v5
	v_add_f32_e32 v11, v28, v11
	v_add_f32_e32 v45, v34, v26
	v_sub_f32_e32 v43, v26, v28
	s_load_b64 s[2:3], s[2:3], 0x0
	v_fmamk_f32 v46, v41, 0x3f737871, v0
	v_fmac_f32_e32 v0, 0xbf737871, v41
	v_fmac_f32_e32 v5, -0.5, v45
	v_add_f32_e32 v43, v44, v43
	s_delay_alu instid0(VALU_DEP_4) | instskip(NEXT) | instid1(VALU_DEP_4)
	v_dual_add_f32 v11, v24, v11 :: v_dual_fmac_f32 v46, 0x3f167918, v42
	v_fmac_f32_e32 v0, 0xbf167918, v42
	s_delay_alu instid0(VALU_DEP_4) | instskip(SKIP_1) | instid1(VALU_DEP_4)
	v_dual_sub_f32 v44, v24, v34 :: v_dual_fmamk_f32 v45, v42, 0xbf737871, v5
	v_add_f32_e32 v48, v27, v6
	v_dual_sub_f32 v47, v28, v26 :: v_dual_fmac_f32 v46, 0x3e9e377a, v43
	v_add_f32_e32 v11, v34, v11
	v_add_f32_e32 v49, v25, v29
	s_delay_alu instid0(VALU_DEP_4) | instskip(SKIP_2) | instid1(VALU_DEP_4)
	v_dual_fmac_f32 v5, 0x3f737871, v42 :: v_dual_add_f32 v42, v29, v48
	v_dual_fmac_f32 v45, 0x3f167918, v41 :: v_dual_sub_f32 v26, v26, v34
	v_add_f32_e32 v44, v44, v47
	v_fma_f32 v47, -0.5, v49, v6
	s_delay_alu instid0(VALU_DEP_4) | instskip(SKIP_1) | instid1(VALU_DEP_4)
	v_add_f32_e32 v34, v25, v42
	v_add_f32_e32 v42, v35, v27
	v_dual_fmac_f32 v0, 0x3e9e377a, v43 :: v_dual_fmac_f32 v45, 0x3e9e377a, v44
	v_dual_fmac_f32 v5, 0xbf167918, v41 :: v_dual_sub_f32 v24, v28, v24
	s_delay_alu instid0(VALU_DEP_3) | instskip(NEXT) | instid1(VALU_DEP_2)
	v_dual_sub_f32 v43, v35, v25 :: v_dual_fmac_f32 v6, -0.5, v42
	v_dual_sub_f32 v28, v27, v29 :: v_dual_fmac_f32 v5, 0x3e9e377a, v44
	v_sub_f32_e32 v27, v29, v27
	v_fmamk_f32 v41, v26, 0xbf737871, v47
	s_delay_alu instid0(VALU_DEP_4) | instskip(NEXT) | instid1(VALU_DEP_4)
	v_dual_fmamk_f32 v42, v24, 0x3f737871, v6 :: v_dual_sub_f32 v25, v25, v35
	v_dual_add_f32 v28, v43, v28 :: v_dual_fmac_f32 v47, 0x3f737871, v26
	s_waitcnt vmcnt(6)
	v_dual_add_f32 v29, v30, v22 :: v_dual_fmac_f32 v6, 0xbf737871, v24
	s_delay_alu instid0(VALU_DEP_3) | instskip(SKIP_2) | instid1(VALU_DEP_3)
	v_dual_fmac_f32 v42, 0xbf167918, v26 :: v_dual_add_f32 v25, v25, v27
	s_waitcnt vmcnt(5)
	v_sub_f32_e32 v44, v32, v30
	v_dual_add_f32 v27, v20, v7 :: v_dual_fmac_f32 v6, 0x3f167918, v26
	v_dual_add_f32 v34, v35, v34 :: v_dual_fmac_f32 v41, 0xbf167918, v24
	s_delay_alu instid0(VALU_DEP_2) | instskip(SKIP_2) | instid1(VALU_DEP_4)
	v_dual_fmac_f32 v47, 0x3f167918, v24 :: v_dual_add_f32 v24, v22, v27
	v_fma_f32 v29, -0.5, v29, v7
	v_sub_f32_e32 v35, v21, v33
	v_dual_fmac_f32 v41, 0x3e9e377a, v28 :: v_dual_fmac_f32 v42, 0x3e9e377a, v25
	s_delay_alu instid0(VALU_DEP_4) | instskip(SKIP_1) | instid1(VALU_DEP_4)
	v_dual_sub_f32 v43, v20, v22 :: v_dual_add_f32 v24, v30, v24
	v_dual_fmac_f32 v47, 0x3e9e377a, v28 :: v_dual_sub_f32 v28, v23, v31
	v_dual_fmamk_f32 v27, v35, 0x3f737871, v29 :: v_dual_add_f32 v48, v32, v20
	s_delay_alu instid0(VALU_DEP_3) | instskip(SKIP_2) | instid1(VALU_DEP_4)
	v_add_f32_e32 v26, v44, v43
	v_fmac_f32_e32 v6, 0x3e9e377a, v25
	v_dual_add_f32 v24, v32, v24 :: v_dual_fmac_f32 v29, 0xbf737871, v35
	v_fmac_f32_e32 v7, -0.5, v48
	v_fmac_f32_e32 v27, 0x3f167918, v28
	v_add_f32_e32 v48, v21, v8
	v_sub_f32_e32 v25, v22, v20
	s_delay_alu instid0(VALU_DEP_4) | instskip(NEXT) | instid1(VALU_DEP_4)
	v_dual_sub_f32 v44, v30, v32 :: v_dual_fmamk_f32 v43, v28, 0xbf737871, v7
	v_fmac_f32_e32 v27, 0x3e9e377a, v26
	v_dual_fmac_f32 v29, 0xbf167918, v28 :: v_dual_sub_f32 v22, v22, v30
	v_dual_add_f32 v49, v31, v23 :: v_dual_sub_f32 v20, v20, v32
	s_delay_alu instid0(VALU_DEP_4) | instskip(SKIP_2) | instid1(VALU_DEP_4)
	v_fmac_f32_e32 v43, 0x3f167918, v35
	v_dual_fmac_f32 v7, 0x3f737871, v28 :: v_dual_sub_f32 v30, v21, v23
	v_dual_add_f32 v28, v23, v48 :: v_dual_add_f32 v25, v44, v25
	v_fma_f32 v44, -0.5, v49, v8
	v_fmac_f32_e32 v29, 0x3e9e377a, v26
	v_cmp_gt_u32_e64 s0, 0x87, v36
	s_delay_alu instid0(VALU_DEP_4) | instskip(SKIP_4) | instid1(VALU_DEP_4)
	v_add_f32_e32 v26, v31, v28
	v_add_f32_e32 v28, v33, v21
	v_fmamk_f32 v32, v20, 0xbf737871, v44
	v_fmac_f32_e32 v7, 0xbf167918, v35
	v_dual_sub_f32 v35, v33, v31 :: v_dual_fmac_f32 v44, 0x3f737871, v20
	v_dual_fmac_f32 v8, -0.5, v28 :: v_dual_fmac_f32 v43, 0x3e9e377a, v25
	v_add_f32_e32 v48, v33, v26
	v_fmac_f32_e32 v32, 0xbf167918, v22
	s_waitcnt vmcnt(1)
	v_dual_fmac_f32 v7, 0x3e9e377a, v25 :: v_dual_add_f32 v26, v12, v16
	v_add_f32_e32 v25, v35, v30
	v_fmamk_f32 v35, v22, 0x3f737871, v8
	v_dual_sub_f32 v21, v23, v21 :: v_dual_fmac_f32 v44, 0x3f167918, v22
	v_dual_sub_f32 v23, v31, v33 :: v_dual_fmac_f32 v8, 0xbf737871, v22
	v_add_f32_e32 v22, v14, v9
	s_waitcnt vmcnt(0)
	v_dual_fmac_f32 v32, 0x3e9e377a, v25 :: v_dual_add_f32 v31, v18, v14
	s_delay_alu instid0(VALU_DEP_3) | instskip(SKIP_4) | instid1(VALU_DEP_3)
	v_dual_add_f32 v21, v23, v21 :: v_dual_fmac_f32 v8, 0x3f167918, v20
	v_fma_f32 v23, -0.5, v26, v9
	v_dual_sub_f32 v26, v15, v19 :: v_dual_fmac_f32 v35, 0xbf167918, v20
	v_add_f32_e32 v20, v16, v22
	v_dual_fmac_f32 v44, 0x3e9e377a, v25 :: v_dual_fmac_f32 v9, -0.5, v31
	v_dual_fmamk_f32 v22, v26, 0x3f737871, v23 :: v_dual_sub_f32 v25, v17, v13
	s_delay_alu instid0(VALU_DEP_4) | instskip(SKIP_2) | instid1(VALU_DEP_4)
	v_dual_fmac_f32 v35, 0x3e9e377a, v21 :: v_dual_sub_f32 v28, v14, v16
	v_dual_sub_f32 v30, v18, v12 :: v_dual_fmac_f32 v23, 0xbf737871, v26
	v_add_f32_e32 v20, v12, v20
	v_dual_fmac_f32 v22, 0x3f167918, v25 :: v_dual_sub_f32 v31, v16, v14
	s_delay_alu instid0(VALU_DEP_3) | instskip(SKIP_3) | instid1(VALU_DEP_4)
	v_dual_add_f32 v28, v30, v28 :: v_dual_fmac_f32 v23, 0xbf167918, v25
	v_fmac_f32_e32 v8, 0x3e9e377a, v21
	v_fmamk_f32 v21, v25, 0xbf737871, v9
	v_add_f32_e32 v30, v13, v17
	v_fmac_f32_e32 v22, 0x3e9e377a, v28
	v_dual_fmac_f32 v23, 0x3e9e377a, v28 :: v_dual_add_f32 v28, v15, v10
	v_dual_fmac_f32 v9, 0x3f737871, v25 :: v_dual_add_f32 v20, v18, v20
	v_sub_f32_e32 v33, v12, v18
	s_delay_alu instid0(VALU_DEP_3) | instskip(SKIP_2) | instid1(VALU_DEP_4)
	v_dual_sub_f32 v14, v14, v18 :: v_dual_add_f32 v25, v17, v28
	v_fmac_f32_e32 v21, 0x3f167918, v26
	v_fma_f32 v49, -0.5, v30, v10
	v_dual_add_f32 v18, v33, v31 :: v_dual_fmac_f32 v9, 0xbf167918, v26
	s_delay_alu instid0(VALU_DEP_4) | instskip(NEXT) | instid1(VALU_DEP_3)
	v_dual_add_f32 v26, v19, v15 :: v_dual_add_f32 v25, v13, v25
	v_dual_fmamk_f32 v31, v14, 0xbf737871, v49 :: v_dual_sub_f32 v12, v16, v12
	s_delay_alu instid0(VALU_DEP_3) | instskip(NEXT) | instid1(VALU_DEP_3)
	v_fmac_f32_e32 v21, 0x3e9e377a, v18
	v_fmac_f32_e32 v10, -0.5, v26
	s_delay_alu instid0(VALU_DEP_4) | instskip(NEXT) | instid1(VALU_DEP_4)
	v_dual_fmac_f32 v9, 0x3e9e377a, v18 :: v_dual_add_f32 v18, v19, v25
	v_dual_fmac_f32 v31, 0xbf167918, v12 :: v_dual_sub_f32 v16, v15, v17
	v_fmac_f32_e32 v49, 0x3f737871, v14
	v_sub_f32_e32 v25, v19, v13
	v_fmamk_f32 v33, v12, 0x3f737871, v10
	v_dual_fmac_f32 v10, 0xbf737871, v12 :: v_dual_sub_f32 v15, v17, v15
	v_mad_i32_i24 v26, v40, 20, 0
	s_delay_alu instid0(VALU_DEP_3) | instskip(NEXT) | instid1(VALU_DEP_3)
	v_dual_add_f32 v16, v25, v16 :: v_dual_fmac_f32 v33, 0xbf167918, v14
	v_dual_fmac_f32 v10, 0x3f167918, v14 :: v_dual_sub_f32 v13, v13, v19
	v_fmac_f32_e32 v49, 0x3f167918, v12
	v_mad_i32_i24 v25, v38, 20, 0
	s_delay_alu instid0(VALU_DEP_3)
	v_dual_fmac_f32 v31, 0x3e9e377a, v16 :: v_dual_add_f32 v12, v13, v15
	v_mad_u32_u24 v13, v36, 20, 0
	ds_store_2addr_b32 v13, v11, v46 offset1:1
	ds_store_2addr_b32 v13, v45, v5 offset0:2 offset1:3
	ds_store_b32 v13, v0 offset:16
	v_lshlrev_b32_e32 v0, 4, v36
	ds_store_2addr_b32 v25, v24, v27 offset1:1
	ds_store_2addr_b32 v25, v43, v7 offset0:2 offset1:3
	ds_store_b32 v25, v29 offset:16
	v_fmac_f32_e32 v49, 0x3e9e377a, v16
	ds_store_2addr_b32 v26, v20, v22 offset1:1
	ds_store_2addr_b32 v26, v21, v9 offset0:2 offset1:3
	ds_store_b32 v26, v23 offset:16
	s_waitcnt lgkmcnt(0)
	v_sub_nc_u32_e32 v0, v13, v0
	s_barrier
	buffer_gl0_inv
	v_lshlrev_b32_e32 v29, 4, v38
	v_lshl_add_u32 v21, v37, 2, 0
	v_add_nc_u32_e32 v19, 0x12e0, v0
	v_add_nc_u32_e32 v27, 0x2200, v0
	;; [unrolled: 1-line block ×4, first 2 shown]
	v_sub_nc_u32_e32 v30, v25, v29
	ds_load_2addr_b32 v[16:17], v19 offset0:7 offset1:250
	v_lshlrev_b32_e32 v28, 4, v40
	ds_load_2addr_b32 v[53:54], v27 offset0:11 offset1:254
	v_add_nc_u32_e32 v22, 0x1a80, v0
	v_lshl_add_u32 v23, v39, 2, 0
	v_and_b32_e32 v5, 0xffff, v38
	v_sub_nc_u32_e32 v11, v26, v28
	ds_load_2addr_b32 v[55:56], v20 offset0:1 offset1:244
	ds_load_b32 v71, v11
	ds_load_2addr_b32 v[57:58], v22 offset0:5 offset1:248
	ds_load_b32 v72, v0
	ds_load_b32 v73, v21
	ds_load_2addr_b32 v[59:60], v24 offset0:7 offset1:250
	ds_load_b32 v74, v30
	ds_load_b32 v75, v23
	s_waitcnt lgkmcnt(0)
	s_barrier
	buffer_gl0_inv
	ds_store_2addr_b32 v13, v34, v41 offset1:1
	ds_store_2addr_b32 v13, v42, v6 offset0:2 offset1:3
	ds_store_b32 v13, v47 offset:16
	v_and_b32_e32 v6, 0xff, v36
	ds_store_2addr_b32 v25, v48, v32 offset1:1
	ds_store_2addr_b32 v25, v35, v8 offset0:2 offset1:3
	ds_store_b32 v25, v44 offset:16
	v_mul_u32_u24_e32 v8, 0xcccd, v5
	v_fmac_f32_e32 v33, 0x3e9e377a, v12
	v_fmac_f32_e32 v10, 0x3e9e377a, v12
	v_mul_lo_u16 v7, 0xcd, v6
	ds_store_2addr_b32 v26, v18, v31 offset1:1
	ds_store_2addr_b32 v26, v33, v10 offset0:2 offset1:3
	ds_store_b32 v26, v49 offset:16
	v_and_b32_e32 v9, 0xffff, v40
	v_lshrrev_b16 v10, 10, v7
	v_lshrrev_b32_e32 v18, 18, v8
	v_and_b32_e32 v7, 0xffff, v37
	s_waitcnt lgkmcnt(0)
	v_mul_u32_u24_e32 v12, 0xcccd, v9
	v_mul_lo_u16 v8, v10, 5
	v_mul_lo_u16 v13, v18, 5
	v_mul_u32_u24_e32 v15, 0xcccd, v7
	s_barrier
	v_lshrrev_b32_e32 v35, 18, v12
	v_sub_nc_u16 v14, v36, v8
	v_sub_nc_u16 v12, v38, v13
	v_and_b32_e32 v8, 0xffff, v39
	v_lshrrev_b32_e32 v77, 18, v15
	v_mul_lo_u16 v13, v35, 5
	buffer_gl0_inv
	v_and_b32_e32 v78, 0xffff, v12
	v_mul_u32_u24_e32 v12, 0xcccd, v8
	v_mul_lo_u16 v31, v77, 5
	v_sub_nc_u16 v32, v40, v13
	s_delay_alu instid0(VALU_DEP_3) | instskip(NEXT) | instid1(VALU_DEP_3)
	v_lshrrev_b32_e32 v79, 18, v12
	v_sub_nc_u16 v41, v37, v31
	s_delay_alu instid0(VALU_DEP_3) | instskip(NEXT) | instid1(VALU_DEP_3)
	v_and_b32_e32 v80, 0xffff, v32
	v_mul_lo_u16 v42, v79, 5
	s_delay_alu instid0(VALU_DEP_3) | instskip(NEXT) | instid1(VALU_DEP_3)
	v_and_b32_e32 v81, 0xffff, v41
	v_lshlrev_b32_e32 v41, 4, v80
	s_delay_alu instid0(VALU_DEP_3) | instskip(NEXT) | instid1(VALU_DEP_3)
	v_sub_nc_u16 v45, v39, v42
	v_lshlrev_b32_e32 v46, 4, v81
	global_load_b128 v[41:44], v41, s[8:9]
	v_and_b32_e32 v82, 0xffff, v45
	global_load_b128 v[45:48], v46, s[8:9]
	v_and_b32_e32 v76, 0xff, v14
	v_lshlrev_b32_e32 v33, 4, v78
	v_lshlrev_b32_e32 v49, 4, v82
	s_clause 0x1
	global_load_b128 v[31:34], v33, s[8:9]
	global_load_b128 v[49:52], v49, s[8:9]
	v_lshlrev_b32_e32 v14, 4, v76
	global_load_b128 v[12:15], v14, s[8:9]
	ds_load_2addr_b32 v[61:62], v19 offset0:7 offset1:250
	ds_load_2addr_b32 v[63:64], v27 offset0:11 offset1:254
	;; [unrolled: 1-line block ×4, first 2 shown]
	s_waitcnt vmcnt(2) lgkmcnt(1)
	v_mul_f32_e32 v91, v65, v34
	ds_load_b32 v83, v11
	ds_load_b32 v84, v0
	;; [unrolled: 1-line block ×3, first 2 shown]
	ds_load_2addr_b32 v[69:70], v24 offset0:7 offset1:250
	ds_load_b32 v86, v30
	ds_load_b32 v87, v23
	v_mul_f32_e32 v90, v62, v32
	v_mul_f32_e32 v32, v17, v32
	;; [unrolled: 1-line block ×3, first 2 shown]
	v_fma_f32 v55, v55, v33, -v91
	s_waitcnt vmcnt(0) lgkmcnt(0)
	v_fma_f32 v17, v17, v31, -v90
	v_mul_f32_e32 v88, v61, v13
	v_mul_f32_e32 v13, v16, v13
	;; [unrolled: 1-line block ×4, first 2 shown]
	v_fmac_f32_e32 v32, v62, v31
	v_fma_f32 v16, v16, v12, -v88
	v_fmac_f32_e32 v13, v61, v12
	v_fma_f32 v12, v54, v14, -v89
	v_fmac_f32_e32 v15, v64, v14
	v_mul_f32_e32 v14, v67, v42
	v_mul_f32_e32 v42, v57, v42
	;; [unrolled: 1-line block ×5, first 2 shown]
	v_dual_mul_f32 v46, v58, v46 :: v_dual_mul_f32 v31, v69, v48
	v_mul_f32_e32 v48, v59, v48
	v_dual_fmac_f32 v34, v65, v33 :: v_dual_mul_f32 v33, v63, v50
	v_mul_f32_e32 v50, v53, v50
	v_mul_f32_e32 v62, v70, v52
	v_fma_f32 v14, v57, v41, -v14
	s_delay_alu instid0(VALU_DEP_4)
	v_dual_fmac_f32 v42, v67, v41 :: v_dual_sub_f32 v57, v32, v34
	v_fma_f32 v41, v56, v43, -v54
	v_fmac_f32_e32 v44, v66, v43
	v_fma_f32 v43, v58, v45, -v61
	v_mul_f32_e32 v52, v60, v52
	v_fma_f32 v31, v59, v47, -v31
	v_fma_f32 v33, v53, v49, -v33
	v_dual_fmac_f32 v48, v69, v47 :: v_dual_add_f32 v47, v72, v16
	v_add_f32_e32 v53, v84, v13
	v_dual_fmac_f32 v50, v63, v49 :: v_dual_add_f32 v63, v73, v43
	v_dual_add_f32 v59, v71, v14 :: v_dual_fmac_f32 v46, v68, v45
	v_sub_f32_e32 v61, v42, v44
	v_fma_f32 v45, v60, v51, -v62
	v_add_f32_e32 v60, v14, v41
	v_dual_add_f32 v49, v16, v12 :: v_dual_and_b32 v10, 0xffff, v10
	v_sub_f32_e32 v16, v16, v12
	v_add_f32_e32 v54, v74, v17
	v_dual_add_f32 v66, v85, v46 :: v_dual_add_f32 v67, v75, v33
	v_dual_add_f32 v56, v17, v55 :: v_dual_sub_f32 v65, v46, v48
	v_add_f32_e32 v64, v43, v31
	v_sub_f32_e32 v43, v43, v31
	v_dual_add_f32 v31, v63, v31 :: v_dual_sub_f32 v14, v14, v41
	v_fmac_f32_e32 v71, -0.5, v60
	v_add_f32_e32 v46, v46, v48
	v_dual_add_f32 v12, v47, v12 :: v_dual_add_f32 v47, v53, v15
	v_add_f32_e32 v62, v83, v42
	s_delay_alu instid0(VALU_DEP_3)
	v_dual_add_f32 v42, v42, v44 :: v_dual_fmac_f32 v85, -0.5, v46
	v_dual_add_f32 v58, v86, v32 :: v_dual_sub_f32 v17, v17, v55
	v_fmac_f32_e32 v52, v70, v51
	v_sub_f32_e32 v51, v13, v15
	v_add_f32_e32 v13, v13, v15
	v_dual_add_f32 v15, v59, v41 :: v_dual_add_f32 v32, v32, v34
	s_delay_alu instid0(VALU_DEP_4) | instskip(SKIP_3) | instid1(VALU_DEP_3)
	v_sub_f32_e32 v69, v50, v52
	v_dual_fmac_f32 v83, -0.5, v42 :: v_dual_add_f32 v68, v33, v45
	v_add_f32_e32 v70, v50, v52
	v_fmac_f32_e32 v72, -0.5, v49
	v_dual_fmac_f32 v84, -0.5, v13 :: v_dual_fmamk_f32 v49, v14, 0xbf5db3d7, v83
	s_delay_alu instid0(VALU_DEP_4)
	v_fmac_f32_e32 v75, -0.5, v68
	v_dual_fmac_f32 v86, -0.5, v32 :: v_dual_add_f32 v13, v54, v55
	v_add_f32_e32 v34, v58, v34
	v_add_f32_e32 v32, v62, v44
	v_dual_add_f32 v41, v66, v48 :: v_dual_add_f32 v42, v67, v45
	v_dual_fmamk_f32 v44, v51, 0x3f5db3d7, v72 :: v_dual_sub_f32 v33, v33, v45
	v_dual_fmac_f32 v72, 0xbf5db3d7, v51 :: v_dual_fmamk_f32 v51, v43, 0xbf5db3d7, v85
	v_fmac_f32_e32 v85, 0x3f5db3d7, v43
	v_fmamk_f32 v43, v69, 0x3f5db3d7, v75
	v_dual_fmac_f32 v75, 0xbf5db3d7, v69 :: v_dual_fmamk_f32 v48, v17, 0xbf5db3d7, v86
	v_dual_fmac_f32 v86, 0x3f5db3d7, v17 :: v_dual_fmamk_f32 v17, v61, 0x3f5db3d7, v71
	v_dual_fmac_f32 v71, 0xbf5db3d7, v61 :: v_dual_add_f32 v50, v87, v50
	v_fmac_f32_e32 v87, -0.5, v70
	v_mul_u32_u24_e32 v10, 60, v10
	v_dual_fmamk_f32 v46, v16, 0xbf5db3d7, v84 :: v_dual_lshlrev_b32 v45, 2, v76
	v_dual_fmac_f32 v84, 0x3f5db3d7, v16 :: v_dual_lshlrev_b32 v53, 2, v82
	v_add_f32_e32 v50, v50, v52
	v_fmamk_f32 v52, v33, 0xbf5db3d7, v87
	v_fmac_f32_e32 v87, 0x3f5db3d7, v33
	v_add3_u32 v33, 0, v10, v45
	v_mul_u32_u24_e32 v10, 60, v18
	v_dual_fmac_f32 v73, -0.5, v64 :: v_dual_lshlrev_b32 v18, 2, v78
	v_dual_fmac_f32 v74, -0.5, v56 :: v_dual_fmac_f32 v83, 0x3f5db3d7, v14
	s_barrier
	buffer_gl0_inv
	ds_store_2addr_b32 v33, v12, v44 offset1:5
	ds_store_b32 v33, v72 offset:40
	v_add3_u32 v18, 0, v10, v18
	v_mul_u32_u24_e32 v10, 60, v35
	v_lshlrev_b32_e32 v12, 2, v80
	v_mul_u32_u24_e32 v35, 60, v77
	v_lshlrev_b32_e32 v44, 2, v81
	v_mul_u32_u24_e32 v45, 60, v79
	v_fmamk_f32 v14, v65, 0x3f5db3d7, v73
	v_fmac_f32_e32 v73, 0xbf5db3d7, v65
	v_fmamk_f32 v16, v57, 0x3f5db3d7, v74
	v_fmac_f32_e32 v74, 0xbf5db3d7, v57
	v_add3_u32 v54, 0, v10, v12
	v_add3_u32 v35, 0, v35, v44
	;; [unrolled: 1-line block ×3, first 2 shown]
	ds_store_2addr_b32 v18, v13, v16 offset1:5
	ds_store_b32 v18, v74 offset:40
	ds_store_2addr_b32 v54, v15, v17 offset1:5
	ds_store_b32 v54, v71 offset:40
	;; [unrolled: 2-line block ×4, first 2 shown]
	s_waitcnt lgkmcnt(0)
	s_barrier
	buffer_gl0_inv
	ds_load_2addr_b32 v[16:17], v19 offset0:7 offset1:250
	ds_load_2addr_b32 v[57:58], v27 offset0:11 offset1:254
	;; [unrolled: 1-line block ×3, first 2 shown]
	ds_load_b32 v10, v11
	ds_load_2addr_b32 v[61:62], v22 offset0:5 offset1:248
	ds_load_b32 v14, v0
	ds_load_b32 v12, v21
	ds_load_2addr_b32 v[63:64], v24 offset0:7 offset1:250
	ds_load_b32 v15, v30
	ds_load_b32 v13, v23
	s_waitcnt lgkmcnt(0)
	s_barrier
	buffer_gl0_inv
	ds_store_2addr_b32 v33, v47, v46 offset1:5
	ds_store_b32 v33, v84 offset:40
	ds_store_2addr_b32 v18, v34, v48 offset1:5
	ds_store_b32 v18, v86 offset:40
	v_mul_lo_u16 v18, 0x89, v6
	v_mul_u32_u24_e32 v31, 0x8889, v5
	ds_store_2addr_b32 v54, v32, v49 offset1:5
	ds_store_b32 v54, v83 offset:40
	ds_store_2addr_b32 v35, v41, v51 offset1:5
	v_mul_u32_u24_e32 v33, 0x8889, v9
	ds_store_b32 v35, v85 offset:40
	ds_store_2addr_b32 v44, v50, v52 offset1:5
	ds_store_b32 v44, v87 offset:40
	v_lshrrev_b16 v18, 11, v18
	v_lshrrev_b32_e32 v65, 19, v31
	s_waitcnt lgkmcnt(0)
	v_lshrrev_b32_e32 v35, 19, v33
	v_mul_u32_u24_e32 v33, 0x8889, v7
	v_mul_lo_u16 v31, v18, 15
	v_mul_lo_u16 v32, v65, 15
	s_barrier
	buffer_gl0_inv
	v_lshrrev_b32_e32 v68, 19, v33
	v_sub_nc_u16 v31, v36, v31
	v_sub_nc_u16 v32, v38, v32
	v_mul_lo_u16 v6, 0x6d, v6
	v_mul_u32_u24_e32 v74, 0x2d83, v5
	v_mul_lo_u16 v46, v68, 15
	v_and_b32_e32 v66, 0xff, v31
	v_and_b32_e32 v67, 0xffff, v32
	v_mul_lo_u16 v31, v35, 15
	v_mul_u32_u24_e32 v32, 0x8889, v8
	v_lshrrev_b16 v6, 8, v6
	v_lshlrev_b32_e32 v33, 4, v66
	v_lshlrev_b32_e32 v41, 4, v67
	v_sub_nc_u16 v45, v40, v31
	v_lshrrev_b32_e32 v69, 19, v32
	s_clause 0x1
	global_load_b128 v[31:34], v33, s[8:9] offset:80
	global_load_b128 v[41:44], v41, s[8:9] offset:80
	v_sub_nc_u16 v73, v36, v6
	v_and_b32_e32 v70, 0xffff, v45
	v_sub_nc_u16 v45, v37, v46
	v_mul_lo_u16 v46, v69, 15
	v_lshrrev_b32_e32 v78, 19, v74
	v_lshrrev_b16 v73, 1, v73
	v_lshlrev_b32_e32 v47, 4, v70
	v_and_b32_e32 v71, 0xffff, v45
	v_sub_nc_u16 v49, v39, v46
	v_mul_u32_u24_e32 v74, 0xb4, v68
	v_and_b32_e32 v73, 0x7f, v73
	global_load_b128 v[45:48], v47, s[8:9] offset:80
	v_lshlrev_b32_e32 v68, 2, v66
	v_and_b32_e32 v72, 0xffff, v49
	v_mul_u32_u24_e32 v35, 0xb4, v35
	v_add_nc_u16 v6, v73, v6
	v_mul_u32_u24_e32 v73, 0xb4, v65
	v_mul_lo_u16 v65, v78, 45
	v_lshlrev_b32_e32 v53, 4, v72
	v_mul_u32_u24_e32 v75, 0x2d83, v9
	v_lshrrev_b16 v79, 5, v6
	v_mul_u32_u24_e32 v6, 0xb4, v69
	v_sub_nc_u16 v81, v38, v65
	global_load_b128 v[53:56], v53, s[8:9] offset:80
	v_and_b32_e32 v18, 0xffff, v18
	v_mul_lo_u16 v65, v79, 45
	v_lshlrev_b32_e32 v69, 2, v67
	v_lshrrev_b32_e32 v75, 19, v75
	v_mul_u32_u24_e32 v76, 0x2d83, v7
	v_mul_u32_u24_e32 v18, 0xb4, v18
	v_sub_nc_u16 v82, v36, v65
	ds_load_2addr_b32 v[65:66], v19 offset0:7 offset1:250
	v_add3_u32 v83, 0, v73, v69
	v_mul_lo_u16 v80, v75, 45
	v_add3_u32 v18, 0, v18, v68
	ds_load_2addr_b32 v[67:68], v27 offset0:11 offset1:254
	v_lshlrev_b32_e32 v72, 2, v72
	v_mul_u32_u24_e32 v77, 0x2d83, v8
	v_mul_u32_u24_e32 v9, 0x795d, v9
	s_delay_alu instid0(VALU_DEP_3) | instskip(NEXT) | instid1(VALU_DEP_2)
	v_add3_u32 v6, 0, v6, v72
	v_lshrrev_b32_e32 v9, 22, v9
	s_waitcnt vmcnt(3) lgkmcnt(1)
	v_mul_f32_e32 v91, v65, v32
	v_mul_f32_e32 v32, v16, v32
	s_waitcnt lgkmcnt(0)
	v_mul_f32_e32 v92, v68, v34
	s_waitcnt vmcnt(2)
	v_mul_f32_e32 v93, v66, v42
	v_fma_f32 v16, v16, v31, -v91
	v_fmac_f32_e32 v32, v65, v31
	v_fma_f32 v31, v58, v33, -v92
	v_mul_f32_e32 v34, v58, v34
	s_delay_alu instid0(VALU_DEP_1) | instskip(SKIP_3) | instid1(VALU_DEP_4)
	v_dual_fmac_f32 v34, v68, v33 :: v_dual_mul_f32 v33, v17, v42
	v_lshlrev_b32_e32 v50, 4, v71
	v_lshlrev_b32_e32 v71, 2, v71
	v_fma_f32 v17, v17, v41, -v93
	v_fmac_f32_e32 v33, v66, v41
	global_load_b128 v[49:52], v50, s[8:9] offset:80
	s_waitcnt vmcnt(2)
	v_dual_mul_f32 v41, v60, v48 :: v_dual_lshlrev_b32 v70, 2, v70
	v_add3_u32 v84, 0, v74, v71
	s_delay_alu instid0(VALU_DEP_2)
	v_add3_u32 v35, 0, v35, v70
	ds_load_2addr_b32 v[69:70], v20 offset0:1 offset1:244
	ds_load_b32 v86, v11
	ds_load_2addr_b32 v[71:72], v22 offset0:5 offset1:248
	ds_load_b32 v87, v0
	ds_load_b32 v88, v21
	ds_load_2addr_b32 v[73:74], v24 offset0:7 offset1:250
	ds_load_b32 v89, v30
	ds_load_b32 v90, v23
	s_waitcnt vmcnt(0) lgkmcnt(0)
	s_barrier
	buffer_gl0_inv
	v_mul_f32_e32 v42, v69, v44
	v_mul_f32_e32 v65, v70, v48
	v_fmac_f32_e32 v41, v70, v47
	s_delay_alu instid0(VALU_DEP_3) | instskip(SKIP_4) | instid1(VALU_DEP_4)
	v_fma_f32 v42, v59, v43, -v42
	v_mul_f32_e32 v44, v59, v44
	v_mul_f32_e32 v59, v67, v54
	v_fma_f32 v60, v60, v47, -v65
	v_mul_f32_e32 v65, v74, v56
	v_dual_mul_f32 v47, v64, v56 :: v_dual_fmac_f32 v44, v69, v43
	s_delay_alu instid0(VALU_DEP_1) | instskip(NEXT) | instid1(VALU_DEP_1)
	v_dual_mul_f32 v58, v71, v46 :: v_dual_fmac_f32 v47, v74, v55
	v_fma_f32 v56, v61, v45, -v58
	v_mul_f32_e32 v46, v61, v46
	s_delay_alu instid0(VALU_DEP_1) | instskip(SKIP_3) | instid1(VALU_DEP_4)
	v_dual_fmac_f32 v46, v71, v45 :: v_dual_mul_f32 v43, v62, v50
	v_and_b32_e32 v82, 0xff, v82
	v_mul_f32_e32 v48, v72, v50
	v_mul_f32_e32 v50, v73, v52
	v_dual_mul_f32 v52, v63, v52 :: v_dual_fmac_f32 v43, v72, v49
	s_delay_alu instid0(VALU_DEP_4) | instskip(NEXT) | instid1(VALU_DEP_4)
	v_lshlrev_b32_e32 v85, 4, v82
	v_fma_f32 v45, v62, v49, -v48
	v_mul_f32_e32 v54, v57, v54
	v_fma_f32 v48, v63, v51, -v50
	v_fma_f32 v49, v57, v53, -v59
	;; [unrolled: 1-line block ×3, first 2 shown]
	s_delay_alu instid0(VALU_DEP_4) | instskip(NEXT) | instid1(VALU_DEP_3)
	v_dual_add_f32 v59, v17, v42 :: v_dual_fmac_f32 v54, v67, v53
	v_dual_add_f32 v64, v56, v60 :: v_dual_add_f32 v71, v13, v49
	s_delay_alu instid0(VALU_DEP_3)
	v_add_f32_e32 v72, v49, v50
	v_dual_sub_f32 v49, v49, v50 :: v_dual_add_f32 v58, v15, v17
	v_sub_f32_e32 v17, v17, v42
	v_dual_fmac_f32 v52, v73, v51 :: v_dual_add_f32 v51, v14, v16
	v_add_f32_e32 v57, v87, v32
	v_sub_f32_e32 v55, v32, v34
	v_add_f32_e32 v32, v32, v34
	v_dual_add_f32 v53, v16, v31 :: v_dual_add_f32 v62, v89, v33
	v_dual_add_f32 v67, v12, v45 :: v_dual_add_f32 v68, v45, v48
	v_dual_add_f32 v70, v88, v43 :: v_dual_sub_f32 v45, v45, v48
	v_sub_f32_e32 v65, v46, v41
	v_sub_f32_e32 v61, v33, v44
	v_dual_add_f32 v33, v33, v44 :: v_dual_add_f32 v74, v90, v54
	v_dual_fmac_f32 v87, -0.5, v32 :: v_dual_sub_f32 v16, v16, v31
	v_sub_f32_e32 v69, v43, v52
	v_add_f32_e32 v43, v43, v52
	v_add_f32_e32 v63, v10, v56
	v_dual_add_f32 v66, v86, v46 :: v_dual_fmac_f32 v15, -0.5, v59
	v_add_f32_e32 v46, v46, v41
	v_dual_sub_f32 v56, v56, v60 :: v_dual_fmac_f32 v89, -0.5, v33
	v_sub_f32_e32 v73, v54, v47
	v_add_f32_e32 v54, v54, v47
	v_fmac_f32_e32 v14, -0.5, v53
	v_fmac_f32_e32 v88, -0.5, v43
	v_add_f32_e32 v47, v74, v47
	v_fmac_f32_e32 v13, -0.5, v72
	v_add_f32_e32 v33, v63, v60
	v_dual_fmac_f32 v10, -0.5, v64 :: v_dual_add_f32 v41, v66, v41
	v_fmac_f32_e32 v86, -0.5, v46
	v_dual_fmac_f32 v12, -0.5, v68 :: v_dual_add_f32 v31, v51, v31
	v_add_f32_e32 v34, v57, v34
	v_add_f32_e32 v32, v58, v42
	v_dual_add_f32 v43, v71, v50 :: v_dual_add_f32 v46, v70, v52
	v_fmamk_f32 v50, v16, 0xbf5db3d7, v87
	v_dual_fmac_f32 v87, 0x3f5db3d7, v16 :: v_dual_fmac_f32 v90, -0.5, v54
	v_fmamk_f32 v16, v61, 0x3f5db3d7, v15
	v_fmac_f32_e32 v15, 0xbf5db3d7, v61
	v_fmamk_f32 v51, v17, 0xbf5db3d7, v89
	v_fmamk_f32 v61, v45, 0xbf5db3d7, v88
	v_dual_fmac_f32 v88, 0x3f5db3d7, v45 :: v_dual_fmamk_f32 v45, v73, 0x3f5db3d7, v13
	v_add_f32_e32 v42, v62, v44
	v_dual_add_f32 v44, v67, v48 :: v_dual_fmamk_f32 v53, v69, 0x3f5db3d7, v12
	v_fmamk_f32 v48, v55, 0x3f5db3d7, v14
	v_fmac_f32_e32 v14, 0xbf5db3d7, v55
	v_fmac_f32_e32 v89, 0x3f5db3d7, v17
	v_fmamk_f32 v17, v65, 0x3f5db3d7, v10
	v_dual_fmac_f32 v13, 0xbf5db3d7, v73 :: v_dual_fmamk_f32 v52, v56, 0xbf5db3d7, v86
	v_fmac_f32_e32 v10, 0xbf5db3d7, v65
	v_fmac_f32_e32 v86, 0x3f5db3d7, v56
	;; [unrolled: 1-line block ×3, first 2 shown]
	ds_store_2addr_b32 v18, v31, v48 offset1:15
	ds_store_b32 v18, v14 offset:120
	ds_store_2addr_b32 v83, v32, v16 offset1:15
	ds_store_b32 v83, v15 offset:120
	;; [unrolled: 2-line block ×5, first 2 shown]
	s_waitcnt lgkmcnt(0)
	s_barrier
	buffer_gl0_inv
	ds_load_2addr_b32 v[16:17], v19 offset0:7 offset1:250
	ds_load_2addr_b32 v[53:54], v27 offset0:11 offset1:254
	;; [unrolled: 1-line block ×3, first 2 shown]
	ds_load_b32 v73, v11
	ds_load_2addr_b32 v[57:58], v22 offset0:5 offset1:248
	ds_load_b32 v74, v0
	ds_load_b32 v91, v21
	ds_load_2addr_b32 v[59:60], v24 offset0:7 offset1:250
	ds_load_b32 v92, v30
	ds_load_b32 v93, v23
	v_fmamk_f32 v62, v49, 0xbf5db3d7, v90
	v_fmac_f32_e32 v90, 0x3f5db3d7, v49
	s_waitcnt lgkmcnt(0)
	s_barrier
	buffer_gl0_inv
	ds_store_2addr_b32 v18, v34, v50 offset1:15
	ds_store_b32 v18, v87 offset:120
	ds_store_2addr_b32 v83, v42, v51 offset1:15
	ds_store_b32 v83, v89 offset:120
	;; [unrolled: 2-line block ×5, first 2 shown]
	v_lshrrev_b32_e32 v18, 19, v76
	v_and_b32_e32 v35, 0xffff, v81
	v_sub_nc_u16 v6, v40, v80
	v_lshrrev_b32_e32 v63, 19, v77
	s_waitcnt lgkmcnt(0)
	s_barrier
	buffer_gl0_inv
	global_load_b128 v[12:15], v85, s[8:9] offset:320
	v_mul_lo_u16 v10, v18, 45
	v_lshlrev_b32_e32 v31, 4, v35
	v_and_b32_e32 v67, 0xffff, v6
	v_mul_lo_u16 v6, v63, 45
	v_mul_u32_u24_e32 v61, 0x795d, v5
	v_sub_nc_u16 v10, v37, v10
	global_load_b128 v[31:34], v31, s[8:9] offset:320
	v_lshlrev_b32_e32 v41, 4, v67
	v_sub_nc_u16 v6, v39, v6
	v_mul_u32_u24_e32 v64, 0x795d, v8
	v_lshrrev_b32_e32 v76, 22, v61
	v_mul_u32_u24_e32 v62, 0x795d, v7
	global_load_b128 v[41:44], v41, s[8:9] offset:320
	v_and_b32_e32 v68, 0xffff, v10
	v_and_b32_e32 v69, 0xffff, v6
	v_lshrrev_b32_e32 v80, 22, v64
	v_mul_lo_u16 v64, 0x87, v76
	v_lshrrev_b32_e32 v77, 22, v62
	v_lshlrev_b32_e32 v6, 4, v68
	v_lshlrev_b32_e32 v10, 4, v69
	s_clause 0x1
	global_load_b128 v[45:48], v6, s[8:9] offset:320
	global_load_b128 v[49:52], v10, s[8:9] offset:320
	v_add_nc_u32_e32 v10, 0xffffff79, v36
	v_mov_b32_e32 v6, 0
	v_mul_u32_u24_e32 v70, 0x21c, v78
	v_mul_u32_u24_e32 v71, 0x21c, v75
	;; [unrolled: 1-line block ×3, first 2 shown]
	v_cndmask_b32_e64 v10, v10, v36, s0
	v_mul_lo_u16 v65, 0x87, v9
	v_lshlrev_b32_e32 v35, 2, v35
	v_lshlrev_b32_e32 v67, 2, v67
	;; [unrolled: 1-line block ×5, first 2 shown]
	v_sub_nc_u16 v78, v40, v65
	ds_load_2addr_b32 v[65:66], v27 offset0:11 offset1:254
	v_add3_u32 v35, 0, v70, v35
	v_lshlrev_b64 v[61:62], 3, v[5:6]
	v_mul_u32_u24_e32 v5, 0x21c, v63
	v_sub_nc_u16 v63, v38, v64
	v_add3_u32 v83, 0, v71, v67
	v_add3_u32 v84, 0, v18, v68
	v_and_b32_e32 v72, 0xffff, v79
	v_add3_u32 v5, 0, v5, v69
	v_and_b32_e32 v81, 0xffff, v63
	ds_load_2addr_b32 v[63:64], v19 offset0:7 offset1:250
	ds_load_2addr_b32 v[67:68], v20 offset0:1 offset1:244
	ds_load_b32 v85, v11
	ds_load_2addr_b32 v[69:70], v22 offset0:5 offset1:248
	ds_load_b32 v86, v0
	ds_load_b32 v87, v21
	v_lshlrev_b32_e32 v82, 2, v82
	v_mul_lo_u16 v75, 0x87, v77
	v_add_co_u32 v61, s0, s8, v61
	s_delay_alu instid0(VALU_DEP_1)
	v_add_co_ci_u32_e64 v62, s0, s9, v62, s0
	v_cmp_lt_u32_e64 s0, 0x86, v36
	s_waitcnt vmcnt(4) lgkmcnt(5)
	v_mul_f32_e32 v18, v63, v13
	v_mul_f32_e32 v13, v16, v13
	v_lshlrev_b32_e32 v79, 4, v81
	s_delay_alu instid0(VALU_DEP_3) | instskip(NEXT) | instid1(VALU_DEP_3)
	v_fma_f32 v16, v16, v12, -v18
	v_fmac_f32_e32 v13, v63, v12
	s_waitcnt vmcnt(3)
	v_mul_f32_e32 v18, v64, v32
	s_waitcnt lgkmcnt(4)
	v_dual_mul_f32 v32, v17, v32 :: v_dual_mul_f32 v63, v67, v34
	s_delay_alu instid0(VALU_DEP_2) | instskip(SKIP_1) | instid1(VALU_DEP_3)
	v_fma_f32 v17, v17, v31, -v18
	v_mul_f32_e32 v18, v55, v34
	v_fmac_f32_e32 v32, v64, v31
	s_waitcnt vmcnt(2) lgkmcnt(2)
	v_mul_f32_e32 v34, v69, v42
	v_dual_mul_f32 v31, v57, v42 :: v_dual_mul_f32 v42, v68, v44
	v_fma_f32 v55, v55, v33, -v63
	v_dual_fmac_f32 v18, v67, v33 :: v_dual_mul_f32 v33, v56, v44
	s_delay_alu instid0(VALU_DEP_4) | instskip(NEXT) | instid1(VALU_DEP_4)
	v_fma_f32 v34, v57, v41, -v34
	v_fma_f32 v42, v56, v43, -v42
	s_delay_alu instid0(VALU_DEP_4)
	v_add_f32_e32 v57, v17, v55
	v_fmac_f32_e32 v31, v69, v41
	v_fmac_f32_e32 v33, v68, v43
	s_waitcnt vmcnt(0)
	v_mul_f32_e32 v43, v53, v50
	v_mul_u32_u24_e32 v72, 0x21c, v72
	v_dual_mul_f32 v41, v60, v52 :: v_dual_mul_f32 v88, v66, v15
	v_mul_f32_e32 v15, v54, v15
	s_delay_alu instid0(VALU_DEP_4) | instskip(NEXT) | instid1(VALU_DEP_4)
	v_fmac_f32_e32 v43, v65, v49
	v_add3_u32 v82, 0, v72, v82
	ds_load_2addr_b32 v[71:72], v24 offset0:7 offset1:250
	v_mul_f32_e32 v44, v70, v46
	v_mul_f32_e32 v46, v58, v46
	v_fma_f32 v12, v54, v14, -v88
	v_fmac_f32_e32 v15, v66, v14
	ds_load_b32 v14, v30
	ds_load_b32 v54, v23
	v_mul_f32_e32 v56, v65, v50
	v_fma_f32 v44, v58, v45, -v44
	v_dual_add_f32 v65, v85, v31 :: v_dual_fmac_f32 v46, v70, v45
	s_waitcnt lgkmcnt(0)
	s_barrier
	s_delay_alu instid0(VALU_DEP_2)
	v_add_f32_e32 v66, v91, v44
	buffer_gl0_inv
	v_mul_f32_e32 v63, v71, v48
	v_mul_f32_e32 v50, v72, v52
	v_fmac_f32_e32 v41, v72, v51
	v_sub_f32_e32 v52, v13, v15
	s_delay_alu instid0(VALU_DEP_4) | instskip(SKIP_2) | instid1(VALU_DEP_2)
	v_fma_f32 v45, v59, v47, -v63
	v_dual_mul_f32 v48, v59, v48 :: v_dual_add_f32 v63, v34, v42
	v_add_f32_e32 v59, v14, v32
	v_dual_add_f32 v67, v44, v45 :: v_dual_fmac_f32 v48, v71, v47
	v_sub_f32_e32 v64, v31, v33
	v_add_f32_e32 v31, v31, v33
	v_fma_f32 v47, v53, v49, -v56
	v_add_f32_e32 v53, v86, v13
	v_dual_add_f32 v13, v13, v15 :: v_dual_sub_f32 v58, v32, v18
	s_delay_alu instid0(VALU_DEP_4) | instskip(SKIP_1) | instid1(VALU_DEP_4)
	v_dual_fmac_f32 v85, -0.5, v31 :: v_dual_add_f32 v32, v32, v18
	v_fmac_f32_e32 v91, -0.5, v67
	v_add_f32_e32 v15, v53, v15
	v_add_f32_e32 v69, v87, v46
	v_fma_f32 v49, v60, v51, -v50
	v_add_f32_e32 v50, v74, v16
	v_add_f32_e32 v51, v16, v12
	v_sub_f32_e32 v16, v16, v12
	v_add_f32_e32 v56, v92, v17
	v_dual_add_f32 v71, v47, v49 :: v_dual_add_f32 v60, v73, v34
	v_sub_f32_e32 v34, v34, v42
	v_dual_fmac_f32 v14, -0.5, v32 :: v_dual_fmac_f32 v73, -0.5, v63
	v_add_f32_e32 v32, v65, v33
	v_add_f32_e32 v31, v66, v45
	v_dual_add_f32 v33, v69, v48 :: v_dual_sub_f32 v44, v44, v45
	v_sub_f32_e32 v72, v43, v41
	v_fmac_f32_e32 v86, -0.5, v13
	v_add_f32_e32 v70, v93, v47
	v_fmac_f32_e32 v93, -0.5, v71
	v_add_f32_e32 v88, v54, v43
	v_dual_sub_f32 v68, v46, v48 :: v_dual_add_f32 v43, v43, v41
	v_fmac_f32_e32 v74, -0.5, v51
	v_dual_add_f32 v46, v46, v48 :: v_dual_sub_f32 v17, v17, v55
	v_fmamk_f32 v48, v34, 0xbf5db3d7, v85
	s_delay_alu instid0(VALU_DEP_4)
	v_dual_fmac_f32 v54, -0.5, v43 :: v_dual_fmac_f32 v85, 0x3f5db3d7, v34
	v_add_f32_e32 v41, v88, v41
	v_fmamk_f32 v34, v68, 0x3f5db3d7, v91
	v_fmac_f32_e32 v91, 0xbf5db3d7, v68
	v_fmamk_f32 v43, v52, 0x3f5db3d7, v74
	v_dual_fmac_f32 v87, -0.5, v46 :: v_dual_fmamk_f32 v46, v17, 0xbf5db3d7, v14
	v_dual_fmac_f32 v14, 0x3f5db3d7, v17 :: v_dual_fmamk_f32 v17, v64, 0x3f5db3d7, v73
	v_fmac_f32_e32 v92, -0.5, v57
	v_sub_f32_e32 v47, v47, v49
	v_fmamk_f32 v45, v16, 0xbf5db3d7, v86
	v_fmac_f32_e32 v73, 0xbf5db3d7, v64
	v_dual_add_f32 v12, v50, v12 :: v_dual_add_f32 v13, v56, v55
	v_add_f32_e32 v50, v59, v18
	v_dual_add_f32 v18, v60, v42 :: v_dual_fmamk_f32 v51, v47, 0xbf5db3d7, v54
	v_add_f32_e32 v42, v70, v49
	v_dual_fmac_f32 v74, 0xbf5db3d7, v52 :: v_dual_fmamk_f32 v49, v44, 0xbf5db3d7, v87
	v_fmac_f32_e32 v87, 0x3f5db3d7, v44
	v_fmac_f32_e32 v86, 0x3f5db3d7, v16
	v_fmamk_f32 v44, v72, 0x3f5db3d7, v93
	v_fmac_f32_e32 v93, 0xbf5db3d7, v72
	v_fmamk_f32 v16, v58, 0x3f5db3d7, v92
	v_fmac_f32_e32 v92, 0xbf5db3d7, v58
	ds_store_2addr_b32 v82, v12, v43 offset1:45
	ds_store_b32 v82, v74 offset:360
	ds_store_2addr_b32 v35, v13, v16 offset1:45
	ds_store_b32 v35, v92 offset:360
	;; [unrolled: 2-line block ×5, first 2 shown]
	s_waitcnt lgkmcnt(0)
	s_barrier
	buffer_gl0_inv
	ds_load_2addr_b32 v[12:13], v19 offset0:7 offset1:250
	ds_load_2addr_b32 v[17:18], v27 offset0:11 offset1:254
	ds_load_2addr_b32 v[57:58], v20 offset0:1 offset1:244
	ds_load_b32 v73, v11
	ds_load_2addr_b32 v[59:60], v22 offset0:5 offset1:248
	ds_load_b32 v74, v0
	ds_load_b32 v88, v21
	ds_load_2addr_b32 v[63:64], v24 offset0:7 offset1:250
	ds_load_b32 v89, v30
	ds_load_b32 v90, v23
	v_fmac_f32_e32 v54, 0x3f5db3d7, v47
	s_waitcnt lgkmcnt(0)
	s_barrier
	buffer_gl0_inv
	ds_store_2addr_b32 v82, v15, v45 offset1:45
	ds_store_b32 v82, v86 offset:360
	ds_store_2addr_b32 v35, v50, v46 offset1:45
	ds_store_b32 v35, v14 offset:360
	ds_store_2addr_b32 v83, v32, v48 offset1:45
	ds_store_b32 v83, v85 offset:360
	ds_store_2addr_b32 v84, v33, v49 offset1:45
	ds_store_b32 v84, v87 offset:360
	ds_store_2addr_b32 v5, v41, v51 offset1:45
	ds_store_b32 v5, v54 offset:360
	v_sub_nc_u16 v15, v37, v75
	s_waitcnt lgkmcnt(0)
	s_barrier
	buffer_gl0_inv
	global_load_b128 v[41:44], v79, s[8:9] offset:1040
	v_and_b32_e32 v35, 0xffff, v15
	global_load_b128 v[31:34], v[61:62], off offset:1040
	v_mul_lo_u16 v5, 0x87, v80
	v_mul_u32_u24_e32 v69, 0x654, v76
	v_mul_u32_u24_e32 v70, 0x654, v9
	v_lshlrev_b32_e32 v15, 4, v35
	v_mul_u32_u24_e32 v71, 0x654, v77
	v_sub_nc_u16 v5, v39, v5
	v_mul_u32_u24_e32 v72, 0x654, v80
	v_lshlrev_b32_e32 v35, 2, v35
	global_load_b128 v[49:52], v15, s[8:9] offset:1040
	v_and_b32_e32 v67, 0xffff, v5
	v_add3_u32 v35, 0, v71, v35
	s_delay_alu instid0(VALU_DEP_2)
	v_lshlrev_b32_e32 v5, 4, v67
	v_lshlrev_b32_e32 v67, 2, v67
	global_load_b128 v[53:56], v5, s[8:9] offset:1040
	v_and_b32_e32 v14, 0xffff, v78
	v_add_nc_u32_e32 v5, 0xffffff5e, v36
	v_cndmask_b32_e64 v15, 0, 0x654, s0
	v_cmp_gt_u32_e64 s0, 0xa2, v36
	s_delay_alu instid0(VALU_DEP_4) | instskip(NEXT) | instid1(VALU_DEP_2)
	v_lshlrev_b32_e32 v16, 4, v14
	v_cndmask_b32_e64 v75, v5, v38, s0
	v_mul_u32_u24_e32 v5, 0x43a3, v7
	global_load_b128 v[45:48], v16, s[8:9] offset:1040
	v_mul_u32_u24_e32 v16, 0x43a3, v8
	v_add3_u32 v79, 0, v72, v67
	v_lshlrev_b32_e32 v7, 1, v75
	v_lshrrev_b32_e32 v68, 16, v5
	v_lshlrev_b32_e32 v5, 1, v36
	v_lshrrev_b32_e32 v16, 16, v16
	v_mov_b32_e32 v8, v6
	s_delay_alu instid0(VALU_DEP_2) | instskip(NEXT) | instid1(VALU_DEP_2)
	v_sub_nc_u16 v61, v39, v16
	v_lshlrev_b64 v[7:8], 3, v[7:8]
	s_delay_alu instid0(VALU_DEP_2) | instskip(NEXT) | instid1(VALU_DEP_2)
	v_lshrrev_b16 v76, 1, v61
	v_add_co_u32 v61, s0, s8, v7
	s_delay_alu instid0(VALU_DEP_1) | instskip(NEXT) | instid1(VALU_DEP_3)
	v_add_co_ci_u32_e64 v62, s0, s9, v8, s0
	v_add_nc_u16 v7, v76, v16
	s_delay_alu instid0(VALU_DEP_1)
	v_lshrrev_b16 v76, 8, v7
	ds_load_2addr_b32 v[7:8], v19 offset0:7 offset1:250
	v_mul_lo_u16 v76, 0x195, v76
	s_waitcnt vmcnt(4) lgkmcnt(0)
	v_mul_f32_e32 v91, v8, v42
	v_mul_f32_e32 v42, v13, v42
	s_delay_alu instid0(VALU_DEP_2) | instskip(NEXT) | instid1(VALU_DEP_2)
	v_fma_f32 v13, v13, v41, -v91
	v_fmac_f32_e32 v42, v8, v41
	s_waitcnt vmcnt(2)
	v_mul_f32_e32 v41, v60, v50
	v_lshlrev_b32_e32 v10, 2, v10
	s_delay_alu instid0(VALU_DEP_1) | instskip(SKIP_3) | instid1(VALU_DEP_3)
	v_add3_u32 v78, 0, v15, v10
	v_sub_nc_u16 v15, v37, v68
	v_lshlrev_b64 v[9:10], 3, v[5:6]
	v_add_nc_u32_e32 v5, 0xa2, v5
	v_lshrrev_b16 v15, 1, v15
	s_delay_alu instid0(VALU_DEP_2) | instskip(NEXT) | instid1(VALU_DEP_2)
	v_lshlrev_b64 v[65:66], 3, v[5:6]
	v_add_nc_u16 v5, v15, v68
	v_add_co_u32 v15, s0, s8, v9
	v_lshlrev_b32_e32 v9, 2, v81
	v_add_co_ci_u32_e64 v16, s0, s9, v10, s0
	s_delay_alu instid0(VALU_DEP_4) | instskip(NEXT) | instid1(VALU_DEP_3)
	v_lshrrev_b16 v5, 8, v5
	v_add3_u32 v77, 0, v69, v9
	ds_load_2addr_b32 v[9:10], v27 offset0:11 offset1:254
	v_mul_lo_u16 v68, 0x195, v5
	v_and_b32_e32 v5, 0xffff, v5
	s_delay_alu instid0(VALU_DEP_2) | instskip(NEXT) | instid1(VALU_DEP_2)
	v_sub_nc_u16 v68, v37, v68
	v_mul_u32_u24_e32 v5, 0x12fc, v5
	s_waitcnt lgkmcnt(0)
	v_mul_f32_e32 v87, v10, v34
	v_mul_f32_e32 v34, v18, v34
	s_delay_alu instid0(VALU_DEP_1) | instskip(SKIP_2) | instid1(VALU_DEP_2)
	v_fmac_f32_e32 v34, v10, v33
	v_mul_f32_e32 v86, v7, v32
	v_mul_f32_e32 v32, v12, v32
	v_fma_f32 v12, v12, v31, -v86
	v_lshlrev_b32_e32 v14, 2, v14
	s_delay_alu instid0(VALU_DEP_3)
	v_fmac_f32_e32 v32, v7, v31
	v_fma_f32 v7, v18, v33, -v87
	s_waitcnt vmcnt(0)
	v_dual_mul_f32 v33, v59, v46 :: v_dual_and_b32 v80, 0xffff, v68
	v_add3_u32 v14, 0, v70, v14
	ds_load_2addr_b32 v[67:68], v20 offset0:1 offset1:244
	ds_load_b32 v81, v11
	ds_load_2addr_b32 v[69:70], v22 offset0:5 offset1:248
	ds_load_b32 v82, v0
	ds_load_b32 v83, v21
	ds_load_2addr_b32 v[71:72], v24 offset0:7 offset1:250
	ds_load_b32 v84, v30
	ds_load_b32 v85, v23
	v_mul_f32_e32 v18, v57, v44
	s_waitcnt lgkmcnt(0)
	s_barrier
	buffer_gl0_inv
	v_dual_fmac_f32 v18, v67, v43 :: v_dual_mul_f32 v31, v69, v46
	v_dual_mul_f32 v46, v58, v48 :: v_dual_fmac_f32 v33, v69, v45
	v_fmac_f32_e32 v41, v70, v49
	s_delay_alu instid0(VALU_DEP_3) | instskip(NEXT) | instid1(VALU_DEP_3)
	v_fma_f32 v31, v59, v45, -v31
	v_fmac_f32_e32 v46, v68, v47
	v_mul_f32_e32 v10, v67, v44
	v_add_f32_e32 v45, v74, v12
	s_delay_alu instid0(VALU_DEP_3) | instskip(NEXT) | instid1(VALU_DEP_3)
	v_sub_f32_e32 v59, v33, v46
	v_fma_f32 v10, v57, v43, -v10
	v_mul_f32_e32 v44, v68, v48
	v_mul_f32_e32 v48, v63, v52
	v_dual_mul_f32 v43, v71, v52 :: v_dual_mul_f32 v52, v17, v54
	v_dual_add_f32 v68, v83, v41 :: v_dual_add_f32 v57, v73, v31
	s_delay_alu instid0(VALU_DEP_3) | instskip(SKIP_1) | instid1(VALU_DEP_4)
	v_fmac_f32_e32 v48, v71, v51
	v_mul_f32_e32 v8, v70, v50
	v_fma_f32 v43, v63, v51, -v43
	v_add_f32_e32 v51, v89, v13
	s_delay_alu instid0(VALU_DEP_4) | instskip(NEXT) | instid1(VALU_DEP_4)
	v_sub_f32_e32 v67, v41, v48
	v_fma_f32 v8, v60, v49, -v8
	v_add_f32_e32 v60, v81, v33
	v_add_f32_e32 v41, v41, v48
	;; [unrolled: 1-line block ×3, first 2 shown]
	s_delay_alu instid0(VALU_DEP_4) | instskip(SKIP_2) | instid1(VALU_DEP_4)
	v_dual_add_f32 v63, v88, v8 :: v_dual_fmac_f32 v52, v9, v53
	v_mul_f32_e32 v50, v9, v54
	v_mul_f32_e32 v54, v72, v56
	v_dual_mul_f32 v56, v64, v56 :: v_dual_fmac_f32 v81, -0.5, v33
	s_delay_alu instid0(VALU_DEP_4) | instskip(NEXT) | instid1(VALU_DEP_2)
	v_add_f32_e32 v33, v63, v43
	v_dual_fmac_f32 v83, -0.5, v41 :: v_dual_fmac_f32 v56, v72, v55
	s_delay_alu instid0(VALU_DEP_1)
	v_sub_f32_e32 v71, v52, v56
	v_fma_f32 v17, v17, v53, -v50
	v_add_f32_e32 v53, v13, v10
	v_sub_f32_e32 v13, v13, v10
	v_fma_f32 v44, v58, v47, -v44
	v_add_f32_e32 v47, v12, v7
	v_add_f32_e32 v69, v90, v17
	v_dual_fmac_f32 v89, -0.5, v53 :: v_dual_add_f32 v10, v51, v10
	s_delay_alu instid0(VALU_DEP_4) | instskip(NEXT) | instid1(VALU_DEP_4)
	v_add_f32_e32 v58, v31, v44
	v_dual_sub_f32 v31, v31, v44 :: v_dual_fmac_f32 v74, -0.5, v47
	s_delay_alu instid0(VALU_DEP_2) | instskip(SKIP_1) | instid1(VALU_DEP_3)
	v_fmac_f32_e32 v73, -0.5, v58
	v_fma_f32 v9, v64, v55, -v54
	v_dual_add_f32 v64, v8, v43 :: v_dual_fmamk_f32 v47, v31, 0xbf5db3d7, v81
	v_dual_fmac_f32 v81, 0x3f5db3d7, v31 :: v_dual_sub_f32 v54, v42, v18
	s_delay_alu instid0(VALU_DEP_2) | instskip(SKIP_3) | instid1(VALU_DEP_4)
	v_dual_add_f32 v55, v84, v42 :: v_dual_fmac_f32 v88, -0.5, v64
	v_sub_f32_e32 v8, v8, v43
	v_sub_f32_e32 v49, v32, v34
	v_add_f32_e32 v43, v68, v48
	v_dual_sub_f32 v12, v12, v7 :: v_dual_fmamk_f32 v31, v67, 0x3f5db3d7, v88
	v_add_f32_e32 v70, v17, v9
	v_sub_f32_e32 v17, v17, v9
	v_add_f32_e32 v72, v85, v52
	v_dual_add_f32 v9, v69, v9 :: v_dual_add_f32 v52, v52, v56
	v_add_f32_e32 v50, v82, v32
	v_add_f32_e32 v32, v32, v34
	v_dual_add_f32 v42, v42, v18 :: v_dual_add_f32 v7, v45, v7
	s_delay_alu instid0(VALU_DEP_4) | instskip(SKIP_1) | instid1(VALU_DEP_4)
	v_fmac_f32_e32 v85, -0.5, v52
	v_fmamk_f32 v48, v8, 0xbf5db3d7, v83
	v_fmac_f32_e32 v82, -0.5, v32
	v_add_f32_e32 v32, v55, v18
	v_add_f32_e32 v18, v57, v44
	v_fmamk_f32 v44, v49, 0x3f5db3d7, v74
	v_dual_fmac_f32 v74, 0xbf5db3d7, v49 :: v_dual_fmamk_f32 v49, v17, 0xbf5db3d7, v85
	v_fmac_f32_e32 v85, 0x3f5db3d7, v17
	v_dual_add_f32 v41, v72, v56 :: v_dual_fmac_f32 v84, -0.5, v42
	v_dual_fmamk_f32 v45, v12, 0xbf5db3d7, v82 :: v_dual_add_f32 v34, v50, v34
	v_dual_fmac_f32 v83, 0x3f5db3d7, v8 :: v_dual_fmac_f32 v90, -0.5, v70
	v_fmac_f32_e32 v82, 0x3f5db3d7, v12
	v_add_f32_e32 v42, v60, v46
	v_fmamk_f32 v12, v54, 0x3f5db3d7, v89
	v_dual_fmamk_f32 v46, v13, 0xbf5db3d7, v84 :: v_dual_fmac_f32 v89, 0xbf5db3d7, v54
	v_dual_fmac_f32 v84, 0x3f5db3d7, v13 :: v_dual_fmamk_f32 v13, v59, 0x3f5db3d7, v73
	v_fmac_f32_e32 v73, 0xbf5db3d7, v59
	v_fmac_f32_e32 v88, 0xbf5db3d7, v67
	v_fmamk_f32 v8, v71, 0x3f5db3d7, v90
	v_fmac_f32_e32 v90, 0xbf5db3d7, v71
	ds_store_2addr_b32 v78, v7, v44 offset1:135
	ds_store_b32 v78, v74 offset:1080
	ds_store_2addr_b32 v77, v10, v12 offset1:135
	ds_store_b32 v77, v89 offset:1080
	;; [unrolled: 2-line block ×5, first 2 shown]
	s_waitcnt lgkmcnt(0)
	s_barrier
	buffer_gl0_inv
	ds_load_2addr_b32 v[12:13], v19 offset0:7 offset1:250
	ds_load_2addr_b32 v[17:18], v27 offset0:11 offset1:254
	;; [unrolled: 1-line block ×3, first 2 shown]
	ds_load_b32 v69, v11
	ds_load_2addr_b32 v[55:56], v22 offset0:5 offset1:248
	ds_load_b32 v70, v0
	ds_load_b32 v71, v21
	ds_load_2addr_b32 v[57:58], v24 offset0:7 offset1:250
	ds_load_b32 v72, v30
	ds_load_b32 v73, v23
	s_waitcnt lgkmcnt(0)
	s_barrier
	buffer_gl0_inv
	v_lshlrev_b32_e32 v67, 2, v80
	ds_store_2addr_b32 v78, v34, v45 offset1:135
	ds_store_b32 v78, v82 offset:1080
	ds_store_2addr_b32 v77, v32, v46 offset1:135
	ds_store_b32 v77, v84 offset:1080
	;; [unrolled: 2-line block ×5, first 2 shown]
	v_sub_nc_u16 v14, v39, v76
	v_lshlrev_b32_e32 v35, 4, v80
	v_add_co_u32 v41, s0, s8, v65
	s_waitcnt lgkmcnt(0)
	s_delay_alu instid0(VALU_DEP_3)
	v_and_b32_e32 v14, 0xffff, v14
	s_barrier
	buffer_gl0_inv
	s_clause 0x1
	global_load_b128 v[7:10], v[15:16], off offset:3200
	global_load_b128 v[45:48], v35, s[8:9] offset:3200
	v_add_co_ci_u32_e64 v42, s0, s9, v66, s0
	v_lshlrev_b32_e32 v35, 4, v14
	global_load_b128 v[31:34], v[61:62], off offset:3200
	v_cmp_lt_u32_e64 s0, 0xa1, v36
	global_load_b128 v[41:44], v[41:42], off offset:3200
	v_lshlrev_b32_e32 v65, 2, v75
	global_load_b128 v[49:52], v35, s[8:9] offset:3200
	ds_load_2addr_b32 v[59:60], v19 offset0:7 offset1:250
	v_cndmask_b32_e64 v35, 0, 0x12fc, s0
	ds_load_2addr_b32 v[61:62], v27 offset0:11 offset1:254
	ds_load_2addr_b32 v[63:64], v20 offset0:1 offset1:244
	v_add3_u32 v5, 0, v5, v67
	v_lshl_add_u32 v75, v14, 2, 0
	v_add3_u32 v35, 0, v35, v65
	ds_load_2addr_b32 v[65:66], v22 offset0:5 offset1:248
	ds_load_b32 v76, v30
	ds_load_b32 v77, v11
	ds_load_2addr_b32 v[67:68], v24 offset0:7 offset1:250
	ds_load_b32 v78, v0
	ds_load_b32 v79, v21
	;; [unrolled: 1-line block ×3, first 2 shown]
	v_lshl_add_u32 v74, v36, 2, 0
	s_waitcnt vmcnt(0) lgkmcnt(0)
	s_barrier
	buffer_gl0_inv
	v_mul_f32_e32 v14, v59, v8
	v_mul_f32_e32 v86, v66, v46
	;; [unrolled: 1-line block ×6, first 2 shown]
	v_dual_mul_f32 v34, v53, v34 :: v_dual_mul_f32 v85, v64, v44
	v_mul_f32_e32 v44, v54, v44
	v_fmac_f32_e32 v46, v66, v45
	v_mul_f32_e32 v8, v12, v8
	v_fma_f32 v12, v12, v7, -v14
	v_mul_f32_e32 v14, v61, v50
	v_fmac_f32_e32 v34, v63, v33
	v_fmac_f32_e32 v44, v64, v43
	v_mul_f32_e32 v84, v65, v42
	v_mul_f32_e32 v42, v55, v42
	v_fma_f32 v14, v17, v49, -v14
	v_dual_mul_f32 v82, v60, v32 :: v_dual_add_f32 v63, v79, v46
	v_fmac_f32_e32 v8, v59, v7
	v_fma_f32 v7, v18, v9, -v81
	v_mul_f32_e32 v32, v13, v32
	s_delay_alu instid0(VALU_DEP_4) | instskip(SKIP_2) | instid1(VALU_DEP_4)
	v_fma_f32 v13, v13, v31, -v82
	v_fmac_f32_e32 v42, v65, v41
	v_add_f32_e32 v64, v73, v14
	v_fmac_f32_e32 v32, v60, v31
	v_fma_f32 v31, v53, v33, -v83
	v_fma_f32 v33, v55, v41, -v84
	;; [unrolled: 1-line block ×5, first 2 shown]
	v_mul_f32_e32 v10, v18, v10
	v_mul_f32_e32 v18, v17, v50
	v_add_f32_e32 v56, v69, v33
	v_dual_add_f32 v60, v71, v43 :: v_dual_add_f32 v59, v77, v42
	s_delay_alu instid0(VALU_DEP_3)
	v_dual_add_f32 v55, v76, v32 :: v_dual_fmac_f32 v18, v61, v49
	v_add_f32_e32 v61, v43, v45
	v_sub_f32_e32 v43, v43, v45
	v_dual_fmac_f32 v10, v62, v9 :: v_dual_mul_f32 v9, v57, v48
	v_dual_mul_f32 v48, v68, v52 :: v_dual_add_f32 v57, v33, v41
	v_sub_f32_e32 v33, v33, v41
	v_add_f32_e32 v53, v13, v31
	s_delay_alu instid0(VALU_DEP_4) | instskip(NEXT) | instid1(VALU_DEP_4)
	v_fmac_f32_e32 v9, v67, v47
	v_fma_f32 v17, v58, v51, -v48
	v_dual_fmac_f32 v69, -0.5, v57 :: v_dual_mul_f32 v50, v58, v52
	v_sub_f32_e32 v58, v42, v44
	v_add_f32_e32 v42, v42, v44
	v_sub_f32_e32 v62, v46, v9
	v_add_f32_e32 v46, v46, v9
	v_add_f32_e32 v65, v14, v17
	v_sub_f32_e32 v14, v14, v17
	v_dual_add_f32 v48, v12, v7 :: v_dual_add_f32 v47, v70, v12
	v_fmac_f32_e32 v77, -0.5, v42
	v_fmac_f32_e32 v79, -0.5, v46
	s_delay_alu instid0(VALU_DEP_3) | instskip(SKIP_3) | instid1(VALU_DEP_4)
	v_dual_sub_f32 v49, v8, v10 :: v_dual_fmac_f32 v70, -0.5, v48
	v_add_f32_e32 v42, v63, v9
	v_add_f32_e32 v9, v64, v17
	v_dual_add_f32 v52, v72, v13 :: v_dual_sub_f32 v13, v13, v31
	v_fmamk_f32 v17, v49, 0x3f5db3d7, v70
	v_dual_fmac_f32 v70, 0xbf5db3d7, v49 :: v_dual_fmamk_f32 v49, v33, 0xbf5db3d7, v77
	v_sub_f32_e32 v54, v32, v34
	v_dual_add_f32 v32, v32, v34 :: v_dual_fmac_f32 v73, -0.5, v65
	v_sub_f32_e32 v12, v12, v7
	v_fmac_f32_e32 v72, -0.5, v53
	s_delay_alu instid0(VALU_DEP_3) | instskip(SKIP_2) | instid1(VALU_DEP_3)
	v_dual_fmac_f32 v71, -0.5, v61 :: v_dual_fmac_f32 v76, -0.5, v32
	v_add_f32_e32 v7, v47, v7
	v_dual_add_f32 v48, v55, v34 :: v_dual_fmac_f32 v77, 0x3f5db3d7, v33
	v_fmamk_f32 v46, v13, 0xbf5db3d7, v76
	v_dual_fmac_f32 v76, 0x3f5db3d7, v13 :: v_dual_fmamk_f32 v13, v58, 0x3f5db3d7, v69
	v_dual_fmac_f32 v69, 0xbf5db3d7, v58 :: v_dual_fmac_f32 v50, v68, v51
	v_dual_add_f32 v51, v78, v8 :: v_dual_add_f32 v8, v8, v10
	s_delay_alu instid0(VALU_DEP_2) | instskip(NEXT) | instid1(VALU_DEP_2)
	v_sub_f32_e32 v66, v18, v50
	v_dual_add_f32 v47, v51, v10 :: v_dual_fmac_f32 v78, -0.5, v8
	v_add_f32_e32 v8, v52, v31
	v_add_f32_e32 v10, v56, v41
	s_delay_alu instid0(VALU_DEP_4)
	v_fmamk_f32 v32, v66, 0x3f5db3d7, v73
	v_fmac_f32_e32 v73, 0xbf5db3d7, v66
	v_add_f32_e32 v67, v80, v18
	v_dual_add_f32 v18, v18, v50 :: v_dual_add_f32 v31, v60, v45
	v_fmamk_f32 v45, v12, 0xbf5db3d7, v78
	v_fmac_f32_e32 v78, 0x3f5db3d7, v12
	v_fmamk_f32 v12, v54, 0x3f5db3d7, v72
	s_delay_alu instid0(VALU_DEP_4)
	v_fmac_f32_e32 v80, -0.5, v18
	v_dual_fmamk_f32 v18, v62, 0x3f5db3d7, v71 :: v_dual_add_f32 v41, v59, v44
	v_add_f32_e32 v44, v67, v50
	v_fmac_f32_e32 v72, 0xbf5db3d7, v54
	v_fmac_f32_e32 v71, 0xbf5db3d7, v62
	v_fmamk_f32 v50, v43, 0xbf5db3d7, v79
	v_fmac_f32_e32 v79, 0x3f5db3d7, v43
	v_fmamk_f32 v43, v14, 0xbf5db3d7, v80
	v_fmac_f32_e32 v80, 0x3f5db3d7, v14
	ds_store_b32 v0, v7
	ds_store_b32 v0, v17 offset:1620
	ds_store_b32 v0, v70 offset:3240
	ds_store_b32 v35, v8
	ds_store_b32 v35, v12 offset:1620
	ds_store_b32 v35, v72 offset:3240
	;; [unrolled: 1-line block ×5, first 2 shown]
	ds_store_b32 v5, v31
	ds_store_b32 v5, v18 offset:1620
	ds_store_b32 v5, v71 offset:3240
	;; [unrolled: 1-line block ×5, first 2 shown]
	s_waitcnt lgkmcnt(0)
	s_barrier
	buffer_gl0_inv
	ds_load_2addr_b32 v[7:8], v19 offset0:7 offset1:250
	ds_load_2addr_b32 v[17:18], v27 offset0:11 offset1:254
	ds_load_2addr_b32 v[9:10], v20 offset0:1 offset1:244
	ds_load_b32 v31, v11
	ds_load_2addr_b32 v[11:12], v22 offset0:5 offset1:248
	ds_load_b32 v34, v0
	ds_load_b32 v32, v21
	ds_load_2addr_b32 v[13:14], v24 offset0:7 offset1:250
	ds_load_b32 v30, v30
	ds_load_b32 v33, v23
	s_waitcnt lgkmcnt(0)
	s_barrier
	buffer_gl0_inv
	ds_store_b32 v0, v47
	ds_store_b32 v0, v45 offset:1620
	ds_store_b32 v0, v78 offset:3240
	ds_store_b32 v35, v48
	ds_store_b32 v35, v46 offset:1620
	ds_store_b32 v35, v76 offset:3240
	;; [unrolled: 1-line block ×5, first 2 shown]
	ds_store_b32 v5, v42
	ds_store_b32 v5, v50 offset:1620
	ds_store_b32 v5, v79 offset:3240
	;; [unrolled: 1-line block ×5, first 2 shown]
	s_waitcnt lgkmcnt(0)
	s_barrier
	buffer_gl0_inv
	s_and_saveexec_b32 s0, vcc_lo
	s_cbranch_execz .LBB0_15
; %bb.14:
	v_add_co_u32 v15, vcc_lo, 0x2000, v15
	v_add_co_ci_u32_e32 v16, vcc_lo, 0, v16, vcc_lo
	v_lshlrev_b32_e32 v5, 1, v39
	v_mul_lo_u32 v35, s2, v4
	v_add_nc_u32_e32 v57, 0x1e6, v36
	global_load_b128 v[41:44], v[15:16], off offset:1488
	v_sub_nc_u32_e32 v28, 0, v28
	v_lshlrev_b64 v[15:16], 3, v[5:6]
	v_lshlrev_b32_e32 v5, 1, v37
	v_mul_hi_u32 v61, 0x1af83441, v57
	v_lshlrev_b64 v[1:2], 3, v[1:2]
	v_add_nc_u32_e32 v90, v26, v28
	v_add_co_u32 v15, vcc_lo, s8, v15
	v_add_co_ci_u32_e32 v16, vcc_lo, s9, v16, vcc_lo
	v_lshlrev_b64 v[49:50], 3, v[5:6]
	s_delay_alu instid0(VALU_DEP_3) | instskip(NEXT) | instid1(VALU_DEP_3)
	v_add_co_u32 v15, vcc_lo, 0x2000, v15
	v_add_co_ci_u32_e32 v16, vcc_lo, 0, v16, vcc_lo
	v_lshlrev_b32_e32 v5, 1, v40
	v_lshrrev_b32_e32 v26, 7, v61
	global_load_b128 v[45:48], v[15:16], off offset:1488
	v_add_co_u32 v15, vcc_lo, s8, v49
	v_add_co_ci_u32_e32 v16, vcc_lo, s9, v50, vcc_lo
	v_lshlrev_b64 v[39:40], 3, v[5:6]
	s_delay_alu instid0(VALU_DEP_3) | instskip(NEXT) | instid1(VALU_DEP_3)
	v_add_co_u32 v15, vcc_lo, 0x2000, v15
	v_add_co_ci_u32_e32 v16, vcc_lo, 0, v16, vcc_lo
	v_lshlrev_b32_e32 v5, 1, v38
	global_load_b128 v[49:52], v[15:16], off offset:1488
	v_add_co_u32 v15, vcc_lo, s8, v39
	v_add_co_ci_u32_e32 v16, vcc_lo, s9, v40, vcc_lo
	v_lshlrev_b64 v[5:6], 3, v[5:6]
	s_delay_alu instid0(VALU_DEP_3) | instskip(NEXT) | instid1(VALU_DEP_3)
	v_add_co_u32 v15, vcc_lo, 0x2000, v15
	v_add_co_ci_u32_e32 v16, vcc_lo, 0, v16, vcc_lo
	s_delay_alu instid0(VALU_DEP_3) | instskip(SKIP_3) | instid1(VALU_DEP_2)
	v_add_co_u32 v5, vcc_lo, s8, v5
	global_load_b128 v[37:40], v[15:16], off offset:1488
	v_add_co_ci_u32_e32 v6, vcc_lo, s9, v6, vcc_lo
	v_add_co_u32 v5, vcc_lo, 0x2000, v5
	v_add_co_ci_u32_e32 v6, vcc_lo, 0, v6, vcc_lo
	global_load_b128 v[53:56], v[5:6], off offset:1488
	v_sub_nc_u32_e32 v6, 0, v29
	v_mul_lo_u32 v29, s3, v3
	v_mad_u64_u32 v[4:5], null, s2, v3, 0
	v_mul_hi_u32 v3, 0x1af83441, v36
	s_delay_alu instid0(VALU_DEP_4) | instskip(SKIP_4) | instid1(VALU_DEP_3)
	v_add_nc_u32_e32 v91, v25, v6
	ds_load_2addr_b32 v[15:16], v27 offset0:11 offset1:254
	v_add_nc_u32_e32 v27, 0xf3, v36
	v_add3_u32 v5, v5, v35, v29
	v_lshrrev_b32_e32 v3, 7, v3
	v_mul_hi_u32 v60, 0x1af83441, v27
	s_delay_alu instid0(VALU_DEP_2) | instskip(NEXT) | instid1(VALU_DEP_4)
	v_mul_u32_u24_e32 v6, 0x4bf, v3
	v_lshlrev_b64 v[3:4], 3, v[4:5]
	s_delay_alu instid0(VALU_DEP_3) | instskip(NEXT) | instid1(VALU_DEP_3)
	v_lshrrev_b32_e32 v25, 7, v60
	v_sub_nc_u32_e32 v61, v36, v6
	v_mul_u32_u24_e32 v6, 0x4bf, v26
	s_delay_alu instid0(VALU_DEP_4) | instskip(NEXT) | instid1(VALU_DEP_4)
	v_add_co_u32 v60, vcc_lo, s6, v3
	v_mul_u32_u24_e32 v5, 0x4bf, v25
	s_delay_alu instid0(VALU_DEP_4) | instskip(NEXT) | instid1(VALU_DEP_4)
	v_add_nc_u32_e32 v70, 0x4bf, v61
	v_sub_nc_u32_e32 v57, v57, v6
	v_add_nc_u32_e32 v71, 0x97e, v61
	s_delay_alu instid0(VALU_DEP_4) | instskip(NEXT) | instid1(VALU_DEP_3)
	v_sub_nc_u32_e32 v27, v27, v5
	v_mad_u32_u24 v73, 0xe3d, v26, v57
	s_delay_alu instid0(VALU_DEP_3) | instskip(NEXT) | instid1(VALU_DEP_3)
	v_mad_u64_u32 v[5:6], null, s12, v71, 0
	v_mad_u32_u24 v72, 0xe3d, v25, v27
	s_delay_alu instid0(VALU_DEP_3) | instskip(NEXT) | instid1(VALU_DEP_2)
	v_add_nc_u32_e32 v78, 0x4bf, v73
	v_mad_u64_u32 v[25:26], null, s12, v72, 0
	s_delay_alu instid0(VALU_DEP_2) | instskip(SKIP_2) | instid1(VALU_DEP_2)
	v_mad_u64_u32 v[64:65], null, s12, v78, 0
	v_add_nc_u32_e32 v58, 0x2d9, v36
	v_add_nc_u32_e32 v76, 0x4bf, v72
	v_mul_hi_u32 v62, 0x1af83441, v58
	s_delay_alu instid0(VALU_DEP_1) | instskip(SKIP_3) | instid1(VALU_DEP_3)
	v_lshrrev_b32_e32 v28, 7, v62
	v_add_co_ci_u32_e32 v62, vcc_lo, s7, v4, vcc_lo
	v_add_co_u32 v92, vcc_lo, v60, v1
	v_mad_u64_u32 v[3:4], null, s12, v61, 0
	v_add_co_ci_u32_e32 v93, vcc_lo, v62, v2, vcc_lo
	v_mad_u64_u32 v[1:2], null, s12, v70, 0
	v_mul_u32_u24_e32 v35, 0x4bf, v28
	s_delay_alu instid0(VALU_DEP_1) | instskip(NEXT) | instid1(VALU_DEP_3)
	v_sub_nc_u32_e32 v35, v58, v35
	v_mad_u64_u32 v[68:69], null, s13, v70, v[2:3]
	v_dual_mov_b32 v2, v26 :: v_dual_add_nc_u32 v59, 0x3cc, v36
	s_delay_alu instid0(VALU_DEP_3) | instskip(SKIP_1) | instid1(VALU_DEP_3)
	v_mad_u32_u24 v74, 0xe3d, v28, v35
	v_mad_u64_u32 v[27:28], null, s12, v73, 0
	v_mul_hi_u32 v29, 0x1af83441, v59
	s_delay_alu instid0(VALU_DEP_3) | instskip(NEXT) | instid1(VALU_DEP_2)
	v_add_nc_u32_e32 v84, 0x97e, v74
	v_lshrrev_b32_e32 v29, 7, v29
	s_delay_alu instid0(VALU_DEP_1) | instskip(NEXT) | instid1(VALU_DEP_1)
	v_mul_u32_u24_e32 v36, 0x4bf, v29
	v_sub_nc_u32_e32 v36, v59, v36
	v_mad_u64_u32 v[59:60], null, s13, v61, v[4:5]
	v_mov_b32_e32 v4, v6
	v_mad_u64_u32 v[60:61], null, s12, v76, 0
	s_delay_alu instid0(VALU_DEP_4)
	v_mad_u32_u24 v75, 0xe3d, v29, v36
	v_mad_u64_u32 v[35:36], null, s12, v74, 0
	v_mov_b32_e32 v6, v28
	v_mad_u64_u32 v[28:29], null, s13, v72, v[2:3]
	v_add_nc_u32_e32 v79, 0x97e, v73
	v_mad_u64_u32 v[57:58], null, s12, v75, 0
	v_mov_b32_e32 v26, v36
	v_mad_u64_u32 v[69:70], null, s13, v71, v[4:5]
	s_delay_alu instid0(VALU_DEP_4) | instskip(SKIP_1) | instid1(VALU_DEP_4)
	v_mad_u64_u32 v[66:67], null, s12, v79, 0
	v_add_nc_u32_e32 v77, 0x97e, v72
	v_mad_u64_u32 v[70:71], null, s13, v74, v[26:27]
	v_mov_b32_e32 v26, v61
	v_dual_mov_b32 v4, v59 :: v_dual_mov_b32 v29, v58
	v_mad_u64_u32 v[58:59], null, s13, v73, v[6:7]
	v_mov_b32_e32 v2, v68
	v_mov_b32_e32 v6, v69
	v_mad_u64_u32 v[68:69], null, s13, v76, v[26:27]
	v_mov_b32_e32 v26, v67
	v_mad_u64_u32 v[62:63], null, s12, v77, 0
	v_mov_b32_e32 v59, v65
	v_add_nc_u32_e32 v83, 0x4bf, v74
	v_add_nc_u32_e32 v67, 0x97e, v75
	v_lshlrev_b64 v[3:4], 3, v[3:4]
	v_mov_b32_e32 v61, v68
	v_lshlrev_b64 v[5:6], 3, v[5:6]
	v_mov_b32_e32 v36, v63
	s_delay_alu instid0(VALU_DEP_4) | instskip(SKIP_2) | instid1(VALU_DEP_3)
	v_add_co_u32 v3, vcc_lo, v92, v3
	v_add_co_ci_u32_e32 v4, vcc_lo, v93, v4, vcc_lo
	s_waitcnt vmcnt(1)
	v_mad_u64_u32 v[71:72], null, s13, v77, v[36:37]
	v_mov_b32_e32 v36, v70
	v_mad_u64_u32 v[72:73], null, s13, v75, v[29:30]
	v_mad_u64_u32 v[69:70], null, s12, v67, 0
	s_delay_alu instid0(VALU_DEP_4)
	v_mov_b32_e32 v63, v71
	v_mad_u64_u32 v[73:74], null, s13, v78, v[59:60]
	v_add_nc_u32_e32 v86, 0x4bf, v75
	v_mad_u64_u32 v[74:75], null, s13, v79, v[26:27]
	v_mov_b32_e32 v26, v28
	v_mov_b32_e32 v28, v58
	v_mad_u64_u32 v[75:76], null, s12, v83, 0
	v_mov_b32_e32 v65, v73
	v_mad_u64_u32 v[77:78], null, s12, v84, 0
	v_mad_u64_u32 v[79:80], null, s12, v86, 0
	v_mov_b32_e32 v58, v72
	v_mov_b32_e32 v29, v76
	s_delay_alu instid0(VALU_DEP_4) | instskip(NEXT) | instid1(VALU_DEP_2)
	v_mov_b32_e32 v59, v78
	v_mad_u64_u32 v[81:82], null, s13, v83, v[29:30]
	ds_load_2addr_b32 v[82:83], v24 offset0:7 offset1:250
	v_mov_b32_e32 v24, v80
	v_mad_u64_u32 v[71:72], null, s13, v84, v[59:60]
	ds_load_2addr_b32 v[84:85], v22 offset0:5 offset1:248
	;; [unrolled: 3-line block ×3, first 2 shown]
	v_mad_u64_u32 v[88:89], null, s13, v67, v[22:23]
	ds_load_2addr_b32 v[19:20], v19 offset0:7 offset1:250
	ds_load_b32 v29, v23
	ds_load_b32 v68, v21
	;; [unrolled: 1-line block ×5, first 2 shown]
	v_lshlrev_b64 v[0:1], 3, v[1:2]
	v_lshlrev_b64 v[21:22], 3, v[25:26]
	;; [unrolled: 1-line block ×3, first 2 shown]
	v_mov_b32_e32 v67, v74
	v_lshlrev_b64 v[25:26], 3, v[35:36]
	v_lshlrev_b64 v[35:36], 3, v[60:61]
	v_add_co_u32 v0, vcc_lo, v92, v0
	v_add_co_ci_u32_e32 v1, vcc_lo, v93, v1, vcc_lo
	v_add_co_u32 v5, vcc_lo, v92, v5
	v_add_co_ci_u32_e32 v6, vcc_lo, v93, v6, vcc_lo
	;; [unrolled: 2-line block ×3, first 2 shown]
	v_add_co_u32 v23, vcc_lo, v92, v23
	v_lshlrev_b64 v[27:28], 3, v[57:58]
	v_lshlrev_b64 v[57:58], 3, v[62:63]
	;; [unrolled: 1-line block ×3, first 2 shown]
	s_waitcnt lgkmcnt(9)
	v_mul_f32_e32 v67, v44, v16
	v_add_co_ci_u32_e32 v24, vcc_lo, v93, v24, vcc_lo
	s_waitcnt lgkmcnt(5)
	v_mul_f32_e32 v2, v42, v19
	v_add_co_u32 v25, vcc_lo, v92, v25
	v_add_co_ci_u32_e32 v26, vcc_lo, v93, v26, vcc_lo
	v_lshlrev_b64 v[59:60], 3, v[64:65]
	v_add_co_u32 v35, vcc_lo, v92, v35
	v_fma_f32 v2, v7, v41, -v2
	v_mul_f32_e32 v16, v43, v16
	v_fma_f32 v43, v18, v43, -v67
	v_dual_mov_b32 v78, v71 :: v_dual_mul_f32 v71, v41, v19
	v_mov_b32_e32 v76, v81
	v_add_co_ci_u32_e32 v36, vcc_lo, v93, v36, vcc_lo
	v_add_co_u32 v57, vcc_lo, v92, v57
	s_delay_alu instid0(VALU_DEP_4)
	v_fmac_f32_e32 v71, v7, v42
	v_add_co_ci_u32_e32 v58, vcc_lo, v93, v58, vcc_lo
	v_lshlrev_b64 v[63:64], 3, v[75:76]
	v_add_co_u32 v59, vcc_lo, v92, v59
	v_fmac_f32_e32 v16, v18, v44
	v_add_co_ci_u32_e32 v60, vcc_lo, v93, v60, vcc_lo
	v_add_co_u32 v61, vcc_lo, v92, v61
	v_add_co_ci_u32_e32 v62, vcc_lo, v93, v62, vcc_lo
	s_delay_alu instid0(VALU_DEP_4)
	v_dual_mov_b32 v80, v72 :: v_dual_add_f32 v41, v71, v16
	v_add_co_u32 v18, vcc_lo, v92, v63
	v_add_f32_e32 v63, v2, v43
	v_sub_f32_e32 v7, v2, v43
	v_dual_add_f32 v2, v34, v2 :: v_dual_mul_f32 v67, v47, v83
	s_waitcnt lgkmcnt(2)
	v_add_f32_e32 v44, v71, v70
	v_fma_f32 v42, -0.5, v41, v70
	v_fma_f32 v41, -0.5, v63, v34
	v_add_f32_e32 v43, v2, v43
	v_mul_f32_e32 v63, v45, v15
	v_add_co_ci_u32_e32 v19, vcc_lo, v93, v64, vcc_lo
	v_sub_f32_e32 v64, v71, v16
	v_add_f32_e32 v44, v16, v44
	v_dual_mul_f32 v34, v48, v83 :: v_dual_fmac_f32 v67, v14, v48
	v_dual_fmac_f32 v63, v17, v46 :: v_dual_mul_f32 v2, v46, v15
	v_fmamk_f32 v16, v7, 0x3f5db3d7, v42
	v_dual_fmac_f32 v42, 0xbf5db3d7, v7 :: v_dual_fmamk_f32 v15, v64, 0xbf5db3d7, v41
	v_fmac_f32_e32 v41, 0x3f5db3d7, v64
	global_store_b64 v[3:4], v[43:44], off
	v_fma_f32 v2, v17, v45, -v2
	v_mul_f32_e32 v17, v51, v82
	v_fma_f32 v4, v14, v47, -v34
	v_mul_f32_e32 v3, v50, v85
	v_dual_mul_f32 v7, v52, v82 :: v_dual_mul_f32 v14, v49, v85
	s_clause 0x1
	global_store_b64 v[0:1], v[41:42], off
	global_store_b64 v[5:6], v[15:16], off
	v_add_f32_e32 v15, v2, v4
	v_dual_sub_f32 v6, v2, v4 :: v_dual_add_f32 v5, v63, v29
	v_dual_add_f32 v0, v63, v67 :: v_dual_fmac_f32 v17, v13, v52
	v_sub_f32_e32 v16, v63, v67
	v_add_f32_e32 v2, v33, v2
	v_fma_f32 v34, v12, v49, -v3
	v_add_f32_e32 v3, v67, v5
	v_fma_f32 v41, v13, v51, -v7
	v_dual_fmac_f32 v14, v12, v50 :: v_dual_mul_f32 v13, v37, v84
	v_dual_mul_f32 v7, v38, v84 :: v_dual_mul_f32 v12, v40, v87
	v_mul_f32_e32 v42, v39, v87
	v_fma_f32 v1, -0.5, v0, v29
	s_delay_alu instid0(VALU_DEP_4)
	v_add_f32_e32 v29, v14, v17
	v_fma_f32 v0, -0.5, v15, v33
	v_dual_add_f32 v2, v2, v4 :: v_dual_fmac_f32 v13, v11, v38
	v_sub_f32_e32 v15, v34, v41
	v_add_f32_e32 v33, v14, v68
	s_waitcnt vmcnt(0)
	v_dual_add_f32 v43, v34, v41 :: v_dual_mul_f32 v38, v56, v86
	v_add_f32_e32 v34, v32, v34
	v_fma_f32 v37, v11, v37, -v7
	v_fma_f32 v39, v10, v39, -v12
	v_dual_fmac_f32 v42, v10, v40 :: v_dual_add_f32 v11, v17, v33
	v_mul_f32_e32 v12, v54, v20
	v_dual_mul_f32 v20, v53, v20 :: v_dual_fmamk_f32 v5, v6, 0x3f5db3d7, v1
	v_dual_sub_f32 v14, v14, v17 :: v_dual_fmac_f32 v1, 0xbf5db3d7, v6
	s_waitcnt lgkmcnt(1)
	v_dual_mul_f32 v40, v55, v86 :: v_dual_add_f32 v17, v13, v73
	v_dual_fmamk_f32 v4, v16, 0xbf5db3d7, v0 :: v_dual_add_f32 v33, v31, v37
	v_fma_f32 v7, -0.5, v29, v68
	v_fmac_f32_e32 v0, 0x3f5db3d7, v16
	v_fma_f32 v6, -0.5, v43, v32
	v_sub_f32_e32 v29, v37, v39
	v_add_f32_e32 v16, v13, v42
	v_add_f32_e32 v32, v37, v39
	v_fma_f32 v37, v8, v53, -v12
	v_fma_f32 v38, v9, v55, -v38
	v_fmac_f32_e32 v20, v8, v54
	v_add_f32_e32 v10, v34, v41
	v_fmamk_f32 v8, v14, 0xbf5db3d7, v6
	v_fmac_f32_e32 v6, 0x3f5db3d7, v14
	v_add_f32_e32 v14, v33, v39
	v_sub_f32_e32 v39, v37, v38
	v_dual_fmac_f32 v40, v9, v56 :: v_dual_fmamk_f32 v9, v15, 0x3f5db3d7, v7
	v_fmac_f32_e32 v7, 0xbf5db3d7, v15
	v_add_f32_e32 v15, v42, v17
	v_add_f32_e32 v33, v37, v38
	;; [unrolled: 1-line block ×3, first 2 shown]
	v_fma_f32 v12, -0.5, v32, v31
	s_waitcnt lgkmcnt(0)
	v_add_f32_e32 v32, v20, v89
	v_sub_f32_e32 v34, v13, v42
	v_fma_f32 v13, -0.5, v16, v73
	v_lshlrev_b64 v[65:66], 3, v[77:78]
	s_delay_alu instid0(VALU_DEP_2) | instskip(SKIP_1) | instid1(VALU_DEP_1)
	v_dual_mov_b32 v70, v88 :: v_dual_fmamk_f32 v31, v29, 0x3f5db3d7, v13
	v_dual_add_f32 v16, v20, v40 :: v_dual_fmac_f32 v13, 0xbf5db3d7, v29
	v_fma_f32 v17, -0.5, v16, v89
	v_fma_f32 v16, -0.5, v33, v30
	v_dual_add_f32 v33, v40, v32 :: v_dual_add_f32 v32, v37, v38
	v_fmamk_f32 v30, v34, 0xbf5db3d7, v12
	s_delay_alu instid0(VALU_DEP_4) | instskip(SKIP_2) | instid1(VALU_DEP_2)
	v_fmamk_f32 v38, v39, 0x3f5db3d7, v17
	v_dual_fmac_f32 v17, 0xbf5db3d7, v39 :: v_dual_sub_f32 v20, v20, v40
	v_fmac_f32_e32 v12, 0x3f5db3d7, v34
	v_fmamk_f32 v37, v20, 0xbf5db3d7, v16
	v_fmac_f32_e32 v16, 0x3f5db3d7, v20
	s_clause 0x6
	global_store_b64 v[21:22], v[32:33], off
	global_store_b64 v[35:36], v[16:17], off
	;; [unrolled: 1-line block ×7, first 2 shown]
	v_add_co_u32 v10, vcc_lo, v92, v65
	v_lshlrev_b64 v[12:13], 3, v[79:80]
	v_add_co_ci_u32_e32 v11, vcc_lo, v93, v66, vcc_lo
	v_add_co_u32 v14, vcc_lo, v92, v27
	v_lshlrev_b64 v[16:17], 3, v[69:70]
	v_add_co_ci_u32_e32 v15, vcc_lo, v93, v28, vcc_lo
	v_add_co_u32 v12, vcc_lo, v92, v12
	v_add_co_ci_u32_e32 v13, vcc_lo, v93, v13, vcc_lo
	s_delay_alu instid0(VALU_DEP_4)
	v_add_co_u32 v16, vcc_lo, v92, v16
	v_add_co_ci_u32_e32 v17, vcc_lo, v93, v17, vcc_lo
	s_clause 0x4
	global_store_b64 v[18:19], v[6:7], off
	global_store_b64 v[10:11], v[8:9], off
	global_store_b64 v[14:15], v[2:3], off
	global_store_b64 v[12:13], v[0:1], off
	global_store_b64 v[16:17], v[4:5], off
.LBB0_15:
	s_nop 0
	s_sendmsg sendmsg(MSG_DEALLOC_VGPRS)
	s_endpgm
	.section	.rodata,"a",@progbits
	.p2align	6, 0x0
	.amdhsa_kernel fft_rtc_fwd_len3645_factors_5_3_3_3_3_3_3_wgs_243_tpt_243_halfLds_sp_op_CI_CI_sbrr_dirReg
		.amdhsa_group_segment_fixed_size 0
		.amdhsa_private_segment_fixed_size 0
		.amdhsa_kernarg_size 104
		.amdhsa_user_sgpr_count 15
		.amdhsa_user_sgpr_dispatch_ptr 0
		.amdhsa_user_sgpr_queue_ptr 0
		.amdhsa_user_sgpr_kernarg_segment_ptr 1
		.amdhsa_user_sgpr_dispatch_id 0
		.amdhsa_user_sgpr_private_segment_size 0
		.amdhsa_wavefront_size32 1
		.amdhsa_uses_dynamic_stack 0
		.amdhsa_enable_private_segment 0
		.amdhsa_system_sgpr_workgroup_id_x 1
		.amdhsa_system_sgpr_workgroup_id_y 0
		.amdhsa_system_sgpr_workgroup_id_z 0
		.amdhsa_system_sgpr_workgroup_info 0
		.amdhsa_system_vgpr_workitem_id 0
		.amdhsa_next_free_vgpr 94
		.amdhsa_next_free_sgpr 31
		.amdhsa_reserve_vcc 1
		.amdhsa_float_round_mode_32 0
		.amdhsa_float_round_mode_16_64 0
		.amdhsa_float_denorm_mode_32 3
		.amdhsa_float_denorm_mode_16_64 3
		.amdhsa_dx10_clamp 1
		.amdhsa_ieee_mode 1
		.amdhsa_fp16_overflow 0
		.amdhsa_workgroup_processor_mode 1
		.amdhsa_memory_ordered 1
		.amdhsa_forward_progress 0
		.amdhsa_shared_vgpr_count 0
		.amdhsa_exception_fp_ieee_invalid_op 0
		.amdhsa_exception_fp_denorm_src 0
		.amdhsa_exception_fp_ieee_div_zero 0
		.amdhsa_exception_fp_ieee_overflow 0
		.amdhsa_exception_fp_ieee_underflow 0
		.amdhsa_exception_fp_ieee_inexact 0
		.amdhsa_exception_int_div_zero 0
	.end_amdhsa_kernel
	.text
.Lfunc_end0:
	.size	fft_rtc_fwd_len3645_factors_5_3_3_3_3_3_3_wgs_243_tpt_243_halfLds_sp_op_CI_CI_sbrr_dirReg, .Lfunc_end0-fft_rtc_fwd_len3645_factors_5_3_3_3_3_3_3_wgs_243_tpt_243_halfLds_sp_op_CI_CI_sbrr_dirReg
                                        ; -- End function
	.section	.AMDGPU.csdata,"",@progbits
; Kernel info:
; codeLenInByte = 13268
; NumSgprs: 33
; NumVgprs: 94
; ScratchSize: 0
; MemoryBound: 0
; FloatMode: 240
; IeeeMode: 1
; LDSByteSize: 0 bytes/workgroup (compile time only)
; SGPRBlocks: 4
; VGPRBlocks: 11
; NumSGPRsForWavesPerEU: 33
; NumVGPRsForWavesPerEU: 94
; Occupancy: 16
; WaveLimiterHint : 1
; COMPUTE_PGM_RSRC2:SCRATCH_EN: 0
; COMPUTE_PGM_RSRC2:USER_SGPR: 15
; COMPUTE_PGM_RSRC2:TRAP_HANDLER: 0
; COMPUTE_PGM_RSRC2:TGID_X_EN: 1
; COMPUTE_PGM_RSRC2:TGID_Y_EN: 0
; COMPUTE_PGM_RSRC2:TGID_Z_EN: 0
; COMPUTE_PGM_RSRC2:TIDIG_COMP_CNT: 0
	.text
	.p2alignl 7, 3214868480
	.fill 96, 4, 3214868480
	.type	__hip_cuid_27811a27503b8dc0,@object ; @__hip_cuid_27811a27503b8dc0
	.section	.bss,"aw",@nobits
	.globl	__hip_cuid_27811a27503b8dc0
__hip_cuid_27811a27503b8dc0:
	.byte	0                               ; 0x0
	.size	__hip_cuid_27811a27503b8dc0, 1

	.ident	"AMD clang version 19.0.0git (https://github.com/RadeonOpenCompute/llvm-project roc-6.4.0 25133 c7fe45cf4b819c5991fe208aaa96edf142730f1d)"
	.section	".note.GNU-stack","",@progbits
	.addrsig
	.addrsig_sym __hip_cuid_27811a27503b8dc0
	.amdgpu_metadata
---
amdhsa.kernels:
  - .args:
      - .actual_access:  read_only
        .address_space:  global
        .offset:         0
        .size:           8
        .value_kind:     global_buffer
      - .offset:         8
        .size:           8
        .value_kind:     by_value
      - .actual_access:  read_only
        .address_space:  global
        .offset:         16
        .size:           8
        .value_kind:     global_buffer
      - .actual_access:  read_only
        .address_space:  global
        .offset:         24
        .size:           8
        .value_kind:     global_buffer
      - .actual_access:  read_only
        .address_space:  global
        .offset:         32
        .size:           8
        .value_kind:     global_buffer
      - .offset:         40
        .size:           8
        .value_kind:     by_value
      - .actual_access:  read_only
        .address_space:  global
        .offset:         48
        .size:           8
        .value_kind:     global_buffer
      - .actual_access:  read_only
        .address_space:  global
        .offset:         56
        .size:           8
        .value_kind:     global_buffer
      - .offset:         64
        .size:           4
        .value_kind:     by_value
      - .actual_access:  read_only
        .address_space:  global
        .offset:         72
        .size:           8
        .value_kind:     global_buffer
      - .actual_access:  read_only
        .address_space:  global
        .offset:         80
        .size:           8
        .value_kind:     global_buffer
      - .actual_access:  read_only
        .address_space:  global
        .offset:         88
        .size:           8
        .value_kind:     global_buffer
      - .actual_access:  write_only
        .address_space:  global
        .offset:         96
        .size:           8
        .value_kind:     global_buffer
    .group_segment_fixed_size: 0
    .kernarg_segment_align: 8
    .kernarg_segment_size: 104
    .language:       OpenCL C
    .language_version:
      - 2
      - 0
    .max_flat_workgroup_size: 243
    .name:           fft_rtc_fwd_len3645_factors_5_3_3_3_3_3_3_wgs_243_tpt_243_halfLds_sp_op_CI_CI_sbrr_dirReg
    .private_segment_fixed_size: 0
    .sgpr_count:     33
    .sgpr_spill_count: 0
    .symbol:         fft_rtc_fwd_len3645_factors_5_3_3_3_3_3_3_wgs_243_tpt_243_halfLds_sp_op_CI_CI_sbrr_dirReg.kd
    .uniform_work_group_size: 1
    .uses_dynamic_stack: false
    .vgpr_count:     94
    .vgpr_spill_count: 0
    .wavefront_size: 32
    .workgroup_processor_mode: 1
amdhsa.target:   amdgcn-amd-amdhsa--gfx1100
amdhsa.version:
  - 1
  - 2
...

	.end_amdgpu_metadata
